;; amdgpu-corpus repo=ROCm/rocFFT kind=compiled arch=gfx1030 opt=O3
	.text
	.amdgcn_target "amdgcn-amd-amdhsa--gfx1030"
	.amdhsa_code_object_version 6
	.protected	bluestein_single_fwd_len150_dim1_sp_op_CI_CI ; -- Begin function bluestein_single_fwd_len150_dim1_sp_op_CI_CI
	.globl	bluestein_single_fwd_len150_dim1_sp_op_CI_CI
	.p2align	8
	.type	bluestein_single_fwd_len150_dim1_sp_op_CI_CI,@function
bluestein_single_fwd_len150_dim1_sp_op_CI_CI: ; @bluestein_single_fwd_len150_dim1_sp_op_CI_CI
; %bb.0:
	s_load_dwordx4 s[16:19], s[4:5], 0x28
	v_mul_u32_u24_e32 v1, 0x3334, v0
	s_mov_b32 s0, exec_lo
	v_lshrrev_b32_e32 v1, 16, v1
	v_mad_u64_u32 v[136:137], null, s6, 12, v[1:2]
	v_mov_b32_e32 v137, 0
	s_waitcnt lgkmcnt(0)
	v_cmpx_gt_u64_e64 s[16:17], v[136:137]
	s_cbranch_execz .LBB0_2
; %bb.1:
	s_clause 0x1
	s_load_dwordx4 s[0:3], s[4:5], 0x18
	s_load_dwordx4 s[8:11], s[4:5], 0x0
	v_mul_lo_u16 v1, v1, 5
	v_mul_hi_u32 v17, 0xaaaaaaab, v136
	s_load_dwordx2 s[4:5], s[4:5], 0x38
	v_sub_nc_u16 v16, v0, v1
	v_lshrrev_b32_e32 v17, 3, v17
	v_and_b32_e32 v198, 0xffff, v16
	v_mul_lo_u16 v16, v16, 10
	v_mul_lo_u32 v17, v17, 12
	v_or_b32_e32 v197, 0x78, v198
	v_lshlrev_b32_e32 v96, 3, v198
	v_or_b32_e32 v199, 40, v198
	s_waitcnt lgkmcnt(0)
	s_load_dwordx4 s[12:15], s[0:1], 0x0
	s_add_u32 s6, s8, 0x4b0
	s_addc_u32 s7, s9, 0
	global_load_dwordx2 v[143:144], v96, s[8:9] offset:960
	v_sub_nc_u32_e32 v17, v136, v17
	v_or_b32_e32 v201, 0x50, v198
	v_and_b32_e32 v16, 0xffff, v16
	v_mul_u32_u24_e32 v17, 0x96, v17
	v_lshlrev_b32_e32 v52, 3, v17
	v_add_nc_u32_e32 v200, v96, v52
	s_waitcnt lgkmcnt(0)
	v_mad_u64_u32 v[0:1], null, s14, v136, 0
	v_mad_u64_u32 v[2:3], null, s12, v197, 0
	;; [unrolled: 1-line block ×3, first 2 shown]
	s_mul_i32 s0, s13, 0x78
	s_mul_hi_u32 s14, s12, 0x78
	s_mul_i32 s1, s12, 0x78
	s_add_i32 s0, s14, s0
	v_mad_u64_u32 v[6:7], null, s15, v136, v[1:2]
	v_mov_b32_e32 v1, v5
	v_mad_u64_u32 v[7:8], null, s13, v197, v[3:4]
	s_mul_i32 s14, s13, 0xf0
	s_mul_hi_u32 s15, s12, 0xf0
	v_mad_u64_u32 v[8:9], null, s13, v198, v[1:2]
	v_mov_b32_e32 v1, v6
	s_mul_i32 s16, s12, 0xf0
	v_mov_b32_e32 v3, v7
	s_add_i32 s15, s15, s14
	s_mul_i32 s14, s13, 0xfffffbf0
	v_lshlrev_b64 v[0:1], 3, v[0:1]
	v_mov_b32_e32 v5, v8
	v_lshlrev_b64 v[2:3], 3, v[2:3]
	s_sub_i32 s14, s14, s12
	v_lshl_add_u32 v204, v16, 3, v52
	v_add_co_u32 v14, vcc_lo, s18, v0
	v_add_co_ci_u32_e32 v15, vcc_lo, s19, v1, vcc_lo
	v_lshlrev_b64 v[0:1], 3, v[4:5]
	v_add_co_u32 v2, vcc_lo, v14, v2
	v_add_co_ci_u32_e32 v3, vcc_lo, v15, v3, vcc_lo
	v_add_co_u32 v0, vcc_lo, v14, v0
	v_add_co_ci_u32_e32 v1, vcc_lo, v15, v1, vcc_lo
	global_load_dwordx2 v[10:11], v[2:3], off
	v_add_co_u32 v2, vcc_lo, v0, s1
	v_add_co_ci_u32_e32 v3, vcc_lo, s0, v1, vcc_lo
	s_clause 0x1
	global_load_dwordx2 v[183:184], v96, s[8:9]
	global_load_dwordx2 v[141:142], v96, s[8:9] offset:120
	s_clause 0x1
	global_load_dwordx2 v[4:5], v[0:1], off
	global_load_dwordx2 v[8:9], v[2:3], off
	v_add_co_u32 v0, vcc_lo, v2, s1
	v_add_co_ci_u32_e32 v1, vcc_lo, s0, v3, vcc_lo
	global_load_dwordx2 v[157:158], v96, s[8:9] offset:240
	v_add_co_u32 v12, vcc_lo, v0, s1
	v_add_co_ci_u32_e32 v13, vcc_lo, s0, v1, vcc_lo
	global_load_dwordx2 v[6:7], v[0:1], off
	global_load_dwordx2 v[137:138], v96, s[8:9] offset:360
	global_load_dwordx2 v[2:3], v[12:13], off
	v_add_co_u32 v12, vcc_lo, v12, s1
	v_add_co_ci_u32_e32 v13, vcc_lo, s0, v13, vcc_lo
	global_load_dwordx2 v[149:150], v96, s[8:9] offset:480
	global_load_dwordx2 v[0:1], v[12:13], off
	v_add_co_u32 v12, vcc_lo, v12, s1
	v_add_co_ci_u32_e32 v13, vcc_lo, s0, v13, vcc_lo
	s_clause 0x9
	global_load_dwordx2 v[159:160], v96, s[8:9] offset:40
	global_load_dwordx2 v[147:148], v96, s[8:9] offset:400
	;; [unrolled: 1-line block ×10, first 2 shown]
	s_waitcnt vmcnt(20)
	v_mul_f32_e32 v18, v10, v144
	v_mul_f32_e32 v17, v11, v144
	s_waitcnt vmcnt(17)
	v_mul_f32_e32 v20, v4, v184
	v_mul_f32_e32 v19, v5, v184
	v_fma_f32 v18, v11, v143, -v18
	s_waitcnt vmcnt(16)
	v_mul_f32_e32 v11, v8, v142
	v_fmac_f32_e32 v17, v10, v143
	v_fma_f32 v20, v5, v183, -v20
	v_mul_f32_e32 v10, v9, v142
	v_fmac_f32_e32 v19, v4, v183
	v_fma_f32 v11, v9, v141, -v11
	ds_write_b64 v200, v[17:18] offset:960
	s_waitcnt vmcnt(14)
	v_mul_f32_e32 v5, v6, v158
	v_mul_f32_e32 v4, v7, v158
	v_fmac_f32_e32 v10, v8, v141
	s_waitcnt vmcnt(12)
	v_mul_f32_e32 v8, v2, v138
	v_fma_f32 v5, v7, v157, -v5
	v_mul_f32_e32 v7, v3, v138
	ds_write_b64 v200, v[10:11] offset:120
	v_fmac_f32_e32 v4, v6, v157
	s_clause 0x1
	global_load_dwordx2 v[177:178], v96, s[8:9] offset:600
	global_load_dwordx2 v[175:176], v96, s[8:9] offset:560
	v_fma_f32 v8, v3, v137, -v8
	v_fmac_f32_e32 v7, v2, v137
	v_add_co_u32 v2, vcc_lo, v12, s1
	s_waitcnt vmcnt(12)
	v_mul_f32_e32 v6, v0, v150
	v_add_co_ci_u32_e32 v3, vcc_lo, s0, v13, vcc_lo
	global_load_dwordx2 v[9:10], v[12:13], off
	ds_write_b64 v200, v[4:5] offset:240
	v_mul_f32_e32 v4, v1, v150
	v_fma_f32 v5, v1, v149, -v6
	v_add_co_u32 v11, vcc_lo, v2, s1
	global_load_dwordx2 v[1:2], v[2:3], off
	s_clause 0x1
	global_load_dwordx2 v[195:196], v96, s[8:9] offset:720
	global_load_dwordx2 v[191:192], v96, s[8:9] offset:760
	v_fmac_f32_e32 v4, v0, v149
	global_load_dwordx2 v[171:172], v96, s[8:9] offset:680
	v_add_co_ci_u32_e32 v12, vcc_lo, s0, v3, vcc_lo
	ds_write_b64 v200, v[7:8] offset:360
	ds_write_b64 v200, v[4:5] offset:480
	global_load_dwordx2 v[7:8], v[11:12], off
	s_clause 0x3
	global_load_dwordx2 v[173:174], v96, s[8:9] offset:840
	global_load_dwordx2 v[167:168], v96, s[8:9] offset:880
	;; [unrolled: 1-line block ×4, first 2 shown]
	s_waitcnt vmcnt(9)
	v_mul_f32_e32 v0, v9, v178
	v_mul_f32_e32 v3, v10, v178
	v_fma_f32 v4, v10, v177, -v0
	v_fmac_f32_e32 v3, v9, v177
	s_waitcnt vmcnt(7)
	v_mul_f32_e32 v0, v1, v196
	v_mul_f32_e32 v5, v2, v196
	v_fma_f32 v6, v2, v195, -v0
	v_add_co_u32 v0, vcc_lo, v11, s16
	v_fmac_f32_e32 v5, v1, v195
	v_add_co_ci_u32_e32 v1, vcc_lo, s15, v12, vcc_lo
	global_load_dwordx2 v[161:162], v96, s[8:9] offset:1080
	global_load_dwordx2 v[10:11], v[0:1], off
	v_mad_u64_u32 v[0:1], null, 0xfffffbf0, s12, v[0:1]
	s_waitcnt vmcnt(5)
	v_mul_f32_e32 v2, v7, v174
	v_fma_f32 v9, v8, v173, -v2
	v_add_nc_u32_e32 v1, s14, v1
	v_mul_f32_e32 v8, v8, v174
	global_load_dwordx2 v[17:18], v[0:1], off
	v_fmac_f32_e32 v8, v7, v173
	s_waitcnt vmcnt(1)
	v_mul_f32_e32 v2, v10, v162
	v_fma_f32 v12, v11, v161, -v2
	v_mul_f32_e32 v11, v11, v162
	v_fmac_f32_e32 v11, v10, v161
	s_waitcnt vmcnt(0)
	v_mul_f32_e32 v2, v17, v160
	v_mul_f32_e32 v21, v18, v160
	v_fma_f32 v22, v18, v159, -v2
	v_fmac_f32_e32 v21, v17, v159
	ds_write_b64 v200, v[3:4] offset:600
	ds_write_b64 v200, v[5:6] offset:720
	;; [unrolled: 1-line block ×4, first 2 shown]
	ds_write2_b64 v200, v[19:20], v[21:22] offset1:5
	v_mad_u64_u32 v[2:3], null, s12, v199, 0
	v_mad_u64_u32 v[3:4], null, s13, v199, v[3:4]
	v_lshlrev_b64 v[2:3], 3, v[2:3]
	v_add_co_u32 v2, vcc_lo, v14, v2
	v_add_co_ci_u32_e32 v3, vcc_lo, v15, v3, vcc_lo
	v_add_co_u32 v0, vcc_lo, v0, s1
	v_add_co_ci_u32_e32 v1, vcc_lo, s0, v1, vcc_lo
	global_load_dwordx2 v[2:3], v[2:3], off
	v_add_co_u32 v5, vcc_lo, v0, s1
	v_add_co_ci_u32_e32 v6, vcc_lo, s0, v1, vcc_lo
	global_load_dwordx2 v[7:8], v[5:6], off
	s_waitcnt vmcnt(1)
	v_mul_f32_e32 v4, v2, v152
	v_fma_f32 v4, v3, v151, -v4
	v_mul_f32_e32 v3, v3, v152
	v_fmac_f32_e32 v3, v2, v151
	s_waitcnt vmcnt(0)
	v_mul_f32_e32 v2, v7, v180
	v_fma_f32 v9, v8, v179, -v2
	v_mul_f32_e32 v8, v8, v180
	v_add_co_u32 v2, vcc_lo, v5, s1
	v_fmac_f32_e32 v8, v7, v179
	ds_write2_b64 v200, v[8:9], v[3:4] offset0:35 offset1:40
	global_load_dwordx2 v[0:1], v[0:1], off
	global_load_dwordx2 v[189:190], v96, s[8:9] offset:160
	v_add_co_ci_u32_e32 v3, vcc_lo, s0, v6, vcc_lo
	s_waitcnt vmcnt(0)
	v_mul_f32_e32 v4, v0, v190
	v_fma_f32 v5, v1, v189, -v4
	v_mul_f32_e32 v4, v1, v190
	v_fmac_f32_e32 v4, v0, v189
	v_add_co_u32 v0, vcc_lo, v2, s1
	v_add_co_ci_u32_e32 v1, vcc_lo, s0, v3, vcc_lo
	global_load_dwordx2 v[2:3], v[2:3], off
	v_add_co_u32 v6, vcc_lo, v0, s16
	v_add_co_ci_u32_e32 v7, vcc_lo, s15, v1, vcc_lo
	global_load_dwordx2 v[0:1], v[0:1], off
	v_add_co_u32 v8, vcc_lo, v6, s1
	v_add_co_ci_u32_e32 v9, vcc_lo, s0, v7, vcc_lo
	v_add_co_u32 v10, vcc_lo, v8, s1
	v_add_co_ci_u32_e32 v11, vcc_lo, s0, v9, vcc_lo
	;; [unrolled: 2-line block ×3, first 2 shown]
	v_mad_u64_u32 v[17:18], null, 0xfffffbf0, s12, v[12:13]
	v_add_nc_u32_e32 v18, s14, v18
	v_add_co_u32 v19, vcc_lo, v17, s1
	v_add_co_ci_u32_e32 v20, vcc_lo, s0, v18, vcc_lo
	global_load_dwordx2 v[21:22], v[19:20], off
	s_waitcnt vmcnt(0)
	v_mul_f32_e32 v23, v21, v154
	v_fma_f32 v23, v22, v153, -v23
	v_mul_f32_e32 v22, v22, v154
	v_fmac_f32_e32 v22, v21, v153
	ds_write2_b64 v200, v[4:5], v[22:23] offset0:20 offset1:25
	v_add_co_u32 v4, vcc_lo, v19, s16
	v_mul_f32_e32 v19, v2, v148
	v_add_co_ci_u32_e32 v5, vcc_lo, s15, v20, vcc_lo
	v_fma_f32 v20, v3, v147, -v19
	v_mul_f32_e32 v19, v3, v148
	v_fmac_f32_e32 v19, v2, v147
	global_load_dwordx2 v[2:3], v[4:5], off
	s_waitcnt vmcnt(0)
	v_mul_f32_e32 v21, v2, v146
	v_fma_f32 v22, v3, v145, -v21
	v_mul_f32_e32 v21, v3, v146
	v_fmac_f32_e32 v21, v2, v145
	v_add_co_u32 v2, vcc_lo, v4, s1
	v_mul_f32_e32 v4, v0, v194
	v_add_co_ci_u32_e32 v3, vcc_lo, s0, v5, vcc_lo
	ds_write2_b64 v200, v[19:20], v[21:22] offset0:50 offset1:55
	v_fma_f32 v5, v1, v193, -v4
	v_mul_f32_e32 v4, v1, v194
	v_fmac_f32_e32 v4, v0, v193
	global_load_dwordx2 v[0:1], v[2:3], off
	s_waitcnt vmcnt(0)
	v_mul_f32_e32 v19, v0, v176
	v_fma_f32 v20, v1, v175, -v19
	v_mul_f32_e32 v19, v1, v176
	v_fmac_f32_e32 v19, v0, v175
	v_mad_u64_u32 v[0:1], null, s12, v201, 0
	ds_write2_b64 v200, v[4:5], v[19:20] offset0:65 offset1:70
	v_mad_u64_u32 v[4:5], null, s13, v201, v[1:2]
	v_mov_b32_e32 v1, v4
	v_lshlrev_b64 v[0:1], 3, v[0:1]
	v_add_co_u32 v0, vcc_lo, v14, v0
	v_add_co_ci_u32_e32 v1, vcc_lo, v15, v1, vcc_lo
	global_load_dwordx2 v[0:1], v[0:1], off
	global_load_dwordx2 v[185:186], v96, s[8:9] offset:640
	v_add_co_u32 v2, vcc_lo, v2, s1
	v_add_co_ci_u32_e32 v3, vcc_lo, s0, v3, vcc_lo
	s_waitcnt vmcnt(0)
	v_mul_f32_e32 v4, v0, v186
	v_fma_f32 v5, v1, v185, -v4
	v_mul_f32_e32 v4, v1, v186
	v_fmac_f32_e32 v4, v0, v185
	global_load_dwordx2 v[0:1], v[2:3], off
	s_waitcnt vmcnt(0)
	v_mul_f32_e32 v14, v0, v172
	v_fma_f32 v15, v1, v171, -v14
	v_mul_f32_e32 v14, v1, v172
	v_fmac_f32_e32 v14, v0, v171
	v_add_co_u32 v0, vcc_lo, v2, s1
	v_add_co_ci_u32_e32 v1, vcc_lo, s0, v3, vcc_lo
	global_load_dwordx2 v[2:3], v[6:7], off
	ds_write2_b64 v200, v[4:5], v[14:15] offset0:80 offset1:85
	global_load_dwordx2 v[5:6], v[0:1], off
	v_add_co_u32 v0, vcc_lo, v0, s1
	v_add_co_ci_u32_e32 v1, vcc_lo, s0, v1, vcc_lo
	s_waitcnt vmcnt(1)
	v_mul_f32_e32 v4, v2, v192
	v_fma_f32 v4, v3, v191, -v4
	v_mul_f32_e32 v3, v3, v192
	v_fmac_f32_e32 v3, v2, v191
	s_waitcnt vmcnt(0)
	v_mul_f32_e32 v2, v5, v170
	v_fma_f32 v7, v6, v169, -v2
	v_mul_f32_e32 v6, v6, v170
	v_fmac_f32_e32 v6, v5, v169
	ds_write2_b64 v200, v[3:4], v[6:7] offset0:95 offset1:100
	global_load_dwordx2 v[2:3], v[8:9], off
	global_load_dwordx2 v[5:6], v[0:1], off
	v_add_co_u32 v0, vcc_lo, v0, s1
	v_add_co_ci_u32_e32 v1, vcc_lo, s0, v1, vcc_lo
	s_waitcnt vmcnt(1)
	v_mul_f32_e32 v4, v2, v168
	v_fma_f32 v4, v3, v167, -v4
	v_mul_f32_e32 v3, v3, v168
	v_fmac_f32_e32 v3, v2, v167
	s_waitcnt vmcnt(0)
	v_mul_f32_e32 v2, v5, v166
	v_fma_f32 v7, v6, v165, -v2
	v_mul_f32_e32 v6, v6, v166
	v_fmac_f32_e32 v6, v5, v165
	ds_write2_b64 v200, v[3:4], v[6:7] offset0:110 offset1:115
	global_load_dwordx2 v[2:3], v[10:11], off
	;; [unrolled: 15-line block ×3, first 2 shown]
	s_clause 0x1
	global_load_dwordx2 v[163:164], v96, s[8:9] offset:1120
	global_load_dwordx2 v[155:156], v96, s[8:9] offset:1160
	global_load_dwordx2 v[0:1], v[0:1], off
	s_load_dwordx4 s[0:3], s[2:3], 0x0
	s_waitcnt vmcnt(2)
	v_mul_f32_e32 v4, v2, v164
	v_fma_f32 v4, v3, v163, -v4
	v_mul_f32_e32 v3, v3, v164
	v_fmac_f32_e32 v3, v2, v163
	s_waitcnt vmcnt(0)
	v_mul_f32_e32 v2, v0, v156
	v_fma_f32 v2, v1, v155, -v2
	v_mul_f32_e32 v1, v1, v156
	v_fmac_f32_e32 v1, v0, v155
	ds_write2_b64 v200, v[3:4], v[1:2] offset0:140 offset1:145
	global_load_dwordx2 v[0:1], v[17:18], off
	s_waitcnt vmcnt(0)
	v_mul_f32_e32 v2, v0, v188
	v_fma_f32 v2, v1, v187, -v2
	v_mul_f32_e32 v1, v1, v188
	v_fmac_f32_e32 v1, v0, v187
	ds_write_b64 v200, v[1:2] offset:80
	s_waitcnt lgkmcnt(0)
	s_barrier
	buffer_gl0_inv
	ds_read2_b64 v[0:3], v200 offset1:5
	ds_read2_b64 v[4:7], v200 offset0:30 offset1:35
	ds_read2_b64 v[8:11], v200 offset0:60 offset1:65
	s_waitcnt lgkmcnt(1)
	v_add_f32_e32 v12, v0, v4
	s_waitcnt lgkmcnt(0)
	v_sub_f32_e32 v49, v4, v8
	v_sub_f32_e32 v37, v8, v4
	;; [unrolled: 1-line block ×4, first 2 shown]
	v_add_f32_e32 v22, v12, v8
	v_add_f32_e32 v12, v1, v5
	v_sub_f32_e32 v31, v6, v10
	v_sub_f32_e32 v20, v10, v6
	;; [unrolled: 1-line block ×4, first 2 shown]
	v_add_f32_e32 v23, v12, v9
	v_add_f32_e32 v12, v2, v6
	;; [unrolled: 1-line block ×5, first 2 shown]
	ds_read2_b64 v[12:15], v200 offset0:90 offset1:95
	s_waitcnt lgkmcnt(0)
	v_add_f32_e32 v48, v8, v12
	v_sub_f32_e32 v32, v9, v13
	v_add_f32_e32 v43, v9, v13
	v_sub_f32_e32 v34, v8, v12
	;; [unrolled: 2-line block ×4, first 2 shown]
	ds_read2_b64 v[8:11], v200 offset0:120 offset1:125
	v_fma_f32 v25, -0.5, v25, v2
	v_fma_f32 v28, -0.5, v28, v3
	s_waitcnt lgkmcnt(0)
	v_sub_f32_e32 v38, v5, v9
	v_add_f32_e32 v45, v4, v8
	v_sub_f32_e32 v40, v4, v8
	v_add_f32_e32 v44, v5, v9
	;; [unrolled: 2-line block ×4, first 2 shown]
	v_add_f32_e32 v4, v22, v12
	v_add_f32_e32 v5, v23, v13
	;; [unrolled: 1-line block ×4, first 2 shown]
	v_sub_f32_e32 v51, v8, v12
	v_sub_f32_e32 v46, v12, v8
	;; [unrolled: 1-line block ×8, first 2 shown]
	v_add_f32_e32 v41, v4, v8
	v_add_f32_e32 v42, v5, v9
	;; [unrolled: 1-line block ×4, first 2 shown]
	ds_read2_b64 v[4:7], v200 offset0:10 offset1:15
	ds_read2_b64 v[8:11], v200 offset0:40 offset1:45
	;; [unrolled: 1-line block ×5, first 2 shown]
	v_add_f32_e32 v16, v37, v46
	v_add_f32_e32 v37, v39, v47
	;; [unrolled: 1-line block ×3, first 2 shown]
	v_fma_f32 v2, -0.5, v26, v2
	v_fmac_f32_e32 v3, -0.5, v27
	s_waitcnt lgkmcnt(3)
	v_add_f32_e32 v54, v6, v10
	s_waitcnt lgkmcnt(2)
	v_sub_f32_e32 v85, v10, v14
	s_waitcnt lgkmcnt(1)
	v_add_f32_e32 v83, v14, v70
	v_sub_f32_e32 v84, v15, v71
	v_sub_f32_e32 v86, v14, v10
	v_add_f32_e32 v55, v54, v14
	v_add_f32_e32 v54, v7, v11
	;; [unrolled: 1-line block ×3, first 2 shown]
	v_sub_f32_e32 v88, v14, v70
	v_sub_f32_e32 v89, v11, v15
	;; [unrolled: 1-line block ×3, first 2 shown]
	v_add_f32_e32 v57, v54, v15
	v_add_f32_e32 v54, v4, v8
	v_sub_f32_e32 v14, v13, v69
	v_sub_f32_e32 v64, v8, v12
	;; [unrolled: 1-line block ×3, first 2 shown]
	v_add_f32_e32 v62, v13, v69
	v_add_f32_e32 v61, v54, v12
	v_add_f32_e32 v54, v5, v9
	v_sub_f32_e32 v65, v9, v13
	v_sub_f32_e32 v58, v13, v9
	s_waitcnt lgkmcnt(0)
	v_sub_f32_e32 v91, v11, v75
	v_add_f32_e32 v92, v10, v74
	v_add_f32_e32 v63, v54, v13
	v_sub_f32_e32 v93, v10, v74
	v_add_f32_e32 v94, v11, v75
	v_sub_f32_e32 v13, v9, v73
	;; [unrolled: 2-line block ×3, first 2 shown]
	v_add_f32_e32 v60, v9, v73
	v_add_f32_e32 v8, v55, v70
	;; [unrolled: 1-line block ×6, first 2 shown]
	v_sub_f32_e32 v12, v12, v68
	v_sub_f32_e32 v95, v74, v70
	;; [unrolled: 1-line block ×9, first 2 shown]
	v_add_f32_e32 v100, v8, v74
	v_add_f32_e32 v101, v9, v75
	;; [unrolled: 1-line block ×4, first 2 shown]
	ds_read2_b64 v[8:11], v200 offset0:20 offset1:25
	ds_read2_b64 v[71:74], v200 offset0:50 offset1:55
	;; [unrolled: 1-line block ×4, first 2 shown]
	v_fma_f32 v83, -0.5, v83, v6
	v_fma_f32 v87, -0.5, v87, v7
	v_add_f32_e32 v85, v85, v95
	v_fma_f32 v6, -0.5, v92, v6
	v_add_f32_e32 v89, v89, v98
	v_add_f32_e32 v39, v86, v97
	v_fmamk_f32 v50, v93, 0xbf737871, v87
	v_fma_f32 v7, -0.5, v94, v7
	v_fmac_f32_e32 v87, 0x3f737871, v93
	v_add_f32_e32 v15, v15, v63
	v_fmac_f32_e32 v50, 0xbf167918, v88
	v_fmac_f32_e32 v87, 0x3f167918, v88
	;; [unrolled: 1-line block ×3, first 2 shown]
	s_waitcnt lgkmcnt(2)
	v_add_f32_e32 v66, v8, v71
	s_waitcnt lgkmcnt(1)
	v_sub_f32_e32 v108, v71, v75
	s_waitcnt lgkmcnt(0)
	v_add_f32_e32 v106, v75, v79
	v_sub_f32_e32 v107, v76, v80
	v_sub_f32_e32 v109, v75, v71
	v_add_f32_e32 v102, v66, v75
	v_add_f32_e32 v66, v9, v72
	;; [unrolled: 1-line block ×3, first 2 shown]
	v_sub_f32_e32 v111, v75, v79
	v_sub_f32_e32 v112, v72, v76
	;; [unrolled: 1-line block ×3, first 2 shown]
	v_add_f32_e32 v103, v66, v76
	v_add_f32_e32 v66, v10, v73
	;; [unrolled: 1-line block ×3, first 2 shown]
	v_sub_f32_e32 v115, v73, v77
	v_sub_f32_e32 v70, v77, v73
	v_add_f32_e32 v116, v78, v82
	v_add_f32_e32 v104, v66, v77
	;; [unrolled: 1-line block ×3, first 2 shown]
	v_sub_f32_e32 v69, v77, v81
	v_sub_f32_e32 v117, v74, v78
	;; [unrolled: 1-line block ×3, first 2 shown]
	v_add_f32_e32 v103, v103, v80
	v_add_f32_e32 v105, v66, v78
	v_sub_f32_e32 v66, v78, v82
	ds_read2_b64 v[75:78], v200 offset0:140 offset1:145
	v_add_f32_e32 v104, v104, v81
	v_add_f32_e32 v102, v102, v79
	;; [unrolled: 1-line block ×3, first 2 shown]
	s_waitcnt lgkmcnt(0)
	s_barrier
	buffer_gl0_inv
	v_fmac_f32_e32 v87, 0x3e9e377a, v89
	v_sub_f32_e32 v119, v72, v76
	v_add_f32_e32 v72, v72, v76
	v_sub_f32_e32 v124, v76, v80
	v_sub_f32_e32 v80, v80, v76
	v_add_f32_e32 v76, v103, v76
	v_fma_f32 v103, -0.5, v48, v0
	v_fma_f32 v0, -0.5, v45, v0
	v_add_f32_e32 v122, v73, v77
	v_sub_f32_e32 v73, v73, v77
	v_sub_f32_e32 v125, v77, v81
	;; [unrolled: 1-line block ×3, first 2 shown]
	v_fmamk_f32 v47, v32, 0xbf737871, v0
	v_fmac_f32_e32 v0, 0x3f737871, v32
	v_add_f32_e32 v77, v104, v77
	v_fma_f32 v104, -0.5, v43, v1
	v_fma_f32 v1, -0.5, v44, v1
	v_fmac_f32_e32 v47, 0x3f167918, v38
	v_fmac_f32_e32 v0, 0xbf167918, v38
	v_add_f32_e32 v120, v71, v75
	v_sub_f32_e32 v71, v71, v75
	v_sub_f32_e32 v123, v75, v79
	;; [unrolled: 1-line block ×3, first 2 shown]
	v_add_f32_e32 v75, v102, v75
	v_add_f32_e32 v102, v49, v51
	v_fmamk_f32 v49, v91, 0x3f737871, v83
	v_fmac_f32_e32 v47, 0x3e9e377a, v16
	v_fmac_f32_e32 v0, 0x3e9e377a, v16
	v_fmamk_f32 v16, v34, 0x3f737871, v1
	v_fmac_f32_e32 v1, 0xbf737871, v34
	v_fmac_f32_e32 v49, 0x3f167918, v84
	v_sub_f32_e32 v121, v74, v78
	v_add_f32_e32 v74, v74, v78
	v_fmac_f32_e32 v16, 0xbf167918, v40
	v_fmac_f32_e32 v1, 0x3f167918, v40
	v_sub_f32_e32 v126, v78, v82
	v_sub_f32_e32 v82, v82, v78
	v_add_f32_e32 v78, v105, v78
	v_fmac_f32_e32 v49, 0x3e9e377a, v85
	v_fmamk_f32 v105, v38, 0x3f737871, v103
	v_fmamk_f32 v127, v40, 0xbf737871, v104
	v_fmac_f32_e32 v16, 0x3e9e377a, v37
	v_fmac_f32_e32 v1, 0x3e9e377a, v37
	v_fmamk_f32 v37, v84, 0xbf737871, v6
	v_fmac_f32_e32 v6, 0x3f737871, v84
	v_mul_f32_e32 v95, 0x3f4f1bbd, v49
	v_mul_f32_e32 v98, 0xbf167918, v49
	v_fmac_f32_e32 v105, 0x3f167918, v32
	v_fmac_f32_e32 v127, 0xbf167918, v34
	;; [unrolled: 1-line block ×10, first 2 shown]
	v_fmamk_f32 v39, v88, 0x3f737871, v7
	v_fmac_f32_e32 v7, 0xbf737871, v88
	v_add_f32_e32 v48, v41, v100
	v_add_f32_e32 v49, v42, v101
	;; [unrolled: 1-line block ×5, first 2 shown]
	v_fmac_f32_e32 v7, 0x3f167918, v93
	v_fmac_f32_e32 v83, 0xbf737871, v91
	;; [unrolled: 1-line block ×3, first 2 shown]
	ds_write_b128 v204, v[48:51]
	v_mul_f32_e32 v50, 0xbe9e377a, v6
	v_fmac_f32_e32 v7, 0x3e9e377a, v43
	v_fmac_f32_e32 v83, 0xbf167918, v84
	;; [unrolled: 1-line block ×6, first 2 shown]
	v_mul_f32_e32 v7, 0xbe9e377a, v7
	v_fmac_f32_e32 v83, 0x3e9e377a, v85
	v_fmac_f32_e32 v103, 0xbf167918, v32
	;; [unrolled: 1-line block ×3, first 2 shown]
	v_mul_f32_e32 v32, 0xbf4f1bbd, v87
	v_fmac_f32_e32 v7, 0xbf737871, v6
	v_mul_f32_e32 v6, 0xbf4f1bbd, v83
	v_mul_f32_e32 v48, 0x3f737871, v39
	;; [unrolled: 1-line block ×3, first 2 shown]
	v_fmac_f32_e32 v103, 0x3e9e377a, v102
	v_fmac_f32_e32 v104, 0x3e9e377a, v53
	;; [unrolled: 1-line block ×6, first 2 shown]
	v_sub_f32_e32 v41, v41, v100
	v_sub_f32_e32 v42, v42, v101
	v_add_f32_e32 v39, v103, v6
	v_add_f32_e32 v40, v104, v32
	v_sub_f32_e32 v37, v105, v95
	v_sub_f32_e32 v38, v127, v98
	v_add_f32_e32 v46, v1, v7
	v_add_f32_e32 v44, v16, v49
	ds_write_b128 v204, v[39:42] offset:32
	v_sub_f32_e32 v39, v47, v48
	v_sub_f32_e32 v40, v16, v49
	v_add_f32_e32 v16, v108, v123
	v_add_nc_u32_e32 v53, 5, v198
	v_add_f32_e32 v45, v0, v50
	v_fmamk_f32 v41, v21, 0xbf737871, v28
	ds_write_b128 v204, v[37:40] offset:48
	v_sub_f32_e32 v38, v1, v7
	v_add_f32_e32 v1, v33, v36
	v_fma_f32 v36, -0.5, v106, v8
	v_sub_f32_e32 v39, v103, v6
	v_sub_f32_e32 v37, v0, v50
	;; [unrolled: 1-line block ×3, first 2 shown]
	v_add_f32_e32 v0, v31, v35
	v_fmamk_f32 v6, v119, 0x3f737871, v36
	v_add_f32_e32 v35, v112, v124
	v_fmac_f32_e32 v36, 0xbf737871, v119
	ds_write_b128 v204, v[37:40] offset:64
	v_fma_f32 v37, -0.5, v110, v9
	v_fmac_f32_e32 v6, 0x3f167918, v107
	v_fma_f32 v9, -0.5, v72, v9
	v_fmac_f32_e32 v36, 0xbf167918, v107
	v_fmamk_f32 v40, v19, 0x3f737871, v25
	v_fmamk_f32 v7, v71, 0xbf737871, v37
	v_fmac_f32_e32 v6, 0x3e9e377a, v16
	v_fmamk_f32 v26, v111, 0x3f737871, v9
	v_fmac_f32_e32 v9, 0xbf737871, v111
	v_fmac_f32_e32 v37, 0x3f737871, v71
	;; [unrolled: 1-line block ×3, first 2 shown]
	v_mul_f32_e32 v38, 0x3f4f1bbd, v6
	v_mul_f32_e32 v39, 0xbf167918, v6
	v_mul_u32_u24_e32 v6, 10, v53
	v_fmac_f32_e32 v26, 0xbf167918, v71
	v_fmac_f32_e32 v7, 0x3e9e377a, v35
	;; [unrolled: 1-line block ×4, first 2 shown]
	v_lshl_add_u32 v203, v6, 3, v52
	v_add_f32_e32 v6, v20, v30
	v_fmamk_f32 v20, v17, 0xbf737871, v2
	v_fmac_f32_e32 v2, 0x3f737871, v17
	v_fmac_f32_e32 v38, 0x3f167918, v7
	;; [unrolled: 1-line block ×3, first 2 shown]
	v_fma_f32 v7, -0.5, v120, v8
	v_fmac_f32_e32 v20, 0x3f167918, v19
	v_fmac_f32_e32 v2, 0xbf167918, v19
	;; [unrolled: 1-line block ×4, first 2 shown]
	v_fmamk_f32 v8, v107, 0xbf737871, v7
	v_fmac_f32_e32 v20, 0x3e9e377a, v6
	v_fmac_f32_e32 v2, 0x3e9e377a, v6
	v_add_f32_e32 v6, v24, v29
	v_fmamk_f32 v24, v18, 0x3f737871, v3
	v_fmac_f32_e32 v3, 0xbf737871, v18
	v_fmac_f32_e32 v7, 0x3f737871, v107
	;; [unrolled: 1-line block ×11, first 2 shown]
	v_add_f32_e32 v6, v109, v79
	v_fmac_f32_e32 v25, 0xbf167918, v17
	v_fmac_f32_e32 v28, 0x3f167918, v18
	v_mul_f32_e32 v16, 0xbf4f1bbd, v36
	v_mul_f32_e32 v17, 0xbf4f1bbd, v37
	v_fmac_f32_e32 v8, 0x3e9e377a, v6
	v_fmac_f32_e32 v7, 0x3e9e377a, v6
	v_add_f32_e32 v6, v113, v80
	v_add_f32_e32 v43, v47, v48
	v_fmac_f32_e32 v41, 0xbf167918, v18
	v_mul_f32_e32 v29, 0xbf737871, v8
	v_fmac_f32_e32 v25, 0x3e9e377a, v0
	v_fmac_f32_e32 v26, 0x3e9e377a, v6
	;; [unrolled: 1-line block ×6, first 2 shown]
	v_mul_f32_e32 v27, 0x3f737871, v26
	v_fmac_f32_e32 v29, 0x3e9e377a, v26
	v_mul_f32_e32 v26, 0xbe9e377a, v7
	v_mul_f32_e32 v30, 0xbe9e377a, v9
	ds_write_b128 v204, v[43:46] offset:16
	v_fmac_f32_e32 v27, 0x3e9e377a, v8
	v_fmac_f32_e32 v40, 0x3e9e377a, v0
	;; [unrolled: 1-line block ×4, first 2 shown]
	v_add_f32_e32 v7, v24, v29
	v_add_f32_e32 v6, v20, v27
	v_fmac_f32_e32 v41, 0x3e9e377a, v1
	v_add_f32_e32 v8, v2, v26
	v_add_f32_e32 v9, v3, v30
	v_sub_f32_e32 v1, v3, v30
	v_sub_f32_e32 v0, v2, v26
	;; [unrolled: 1-line block ×4, first 2 shown]
	ds_write_b128 v203, v[6:9] offset:16
	v_sub_f32_e32 v8, v22, v75
	v_sub_f32_e32 v9, v23, v76
	v_add_f32_e32 v6, v25, v16
	v_add_f32_e32 v7, v28, v17
	v_fma_f32 v16, -0.5, v114, v10
	ds_write_b128 v203, v[0:3] offset:64
	v_fma_f32 v17, -0.5, v116, v11
	v_fma_f32 v21, -0.5, v62, v5
	ds_write_b128 v203, v[6:9] offset:32
	v_sub_f32_e32 v6, v40, v38
	v_sub_f32_e32 v8, v20, v27
	;; [unrolled: 1-line block ×4, first 2 shown]
	v_fmamk_f32 v0, v121, 0x3f737871, v16
	v_fmamk_f32 v1, v73, 0xbf737871, v17
	v_fma_f32 v20, -0.5, v56, v4
	v_add_f32_e32 v31, v22, v75
	ds_write_b128 v203, v[6:9] offset:48
	v_add_f32_e32 v8, v115, v125
	v_fmac_f32_e32 v0, 0x3f167918, v66
	v_add_f32_e32 v32, v23, v76
	v_add_f32_e32 v9, v117, v126
	v_fmac_f32_e32 v1, 0xbf167918, v69
	v_fmamk_f32 v22, v13, 0x3f737871, v20
	v_fmac_f32_e32 v0, 0x3e9e377a, v8
	v_fmamk_f32 v23, v54, 0xbf737871, v21
	v_add_f32_e32 v6, v64, v67
	v_add_f32_e32 v7, v65, v68
	v_fmac_f32_e32 v1, 0x3e9e377a, v9
	v_mul_f32_e32 v18, 0x3f4f1bbd, v0
	v_mul_f32_e32 v19, 0xbf167918, v0
	v_fmac_f32_e32 v22, 0x3f167918, v14
	v_fmac_f32_e32 v23, 0xbf167918, v12
	v_add_nc_u32_e32 v56, 10, v198
	v_fmac_f32_e32 v18, 0x3f167918, v1
	v_fmac_f32_e32 v19, 0x3f4f1bbd, v1
	;; [unrolled: 1-line block ×4, first 2 shown]
	v_mul_u32_u24_e32 v24, 10, v56
	v_add_f32_e32 v33, v40, v38
	v_add_f32_e32 v34, v41, v39
	;; [unrolled: 1-line block ×6, first 2 shown]
	v_lshl_add_u32 v202, v24, 3, v52
	ds_write_b128 v203, v[31:34]
	v_fmac_f32_e32 v11, -0.5, v74
	v_fma_f32 v4, -0.5, v59, v4
	v_fmac_f32_e32 v5, -0.5, v60
	ds_write_b128 v202, v[0:3]
	v_fma_f32 v2, -0.5, v122, v10
	v_add_f32_e32 v0, v70, v81
	v_fmamk_f32 v10, v69, 0x3f737871, v11
	v_fmac_f32_e32 v11, 0xbf737871, v69
	v_fmamk_f32 v25, v14, 0xbf737871, v4
	v_fmamk_f32 v3, v66, 0xbf737871, v2
	v_fmac_f32_e32 v2, 0x3f737871, v66
	v_fmac_f32_e32 v4, 0x3f737871, v14
	v_add_f32_e32 v1, v118, v82
	v_fmac_f32_e32 v11, 0x3f167918, v73
	v_fmac_f32_e32 v25, 0x3f167918, v13
	;; [unrolled: 1-line block ×4, first 2 shown]
	v_fmamk_f32 v26, v12, 0x3f737871, v5
	v_fmac_f32_e32 v5, 0xbf737871, v12
	v_fmac_f32_e32 v10, 0xbf167918, v73
	;; [unrolled: 1-line block ×7, first 2 shown]
	v_mul_f32_e32 v24, 0xbe9e377a, v2
	v_fmac_f32_e32 v25, 0x3e9e377a, v15
	v_fmac_f32_e32 v4, 0x3e9e377a, v15
	v_add_f32_e32 v15, v58, v61
	v_fmac_f32_e32 v26, 0xbf167918, v54
	v_fmac_f32_e32 v5, 0x3f167918, v54
	;; [unrolled: 1-line block ×9, first 2 shown]
	v_mul_f32_e32 v11, 0xbe9e377a, v11
	v_fmac_f32_e32 v26, 0x3e9e377a, v15
	v_fmac_f32_e32 v5, 0x3e9e377a, v15
	v_mul_f32_e32 v15, 0x3f737871, v10
	v_mul_f32_e32 v27, 0xbf737871, v3
	v_fmac_f32_e32 v20, 0xbf167918, v14
	v_fmac_f32_e32 v21, 0x3f167918, v12
	;; [unrolled: 1-line block ×9, first 2 shown]
	v_mul_f32_e32 v6, 0xbf4f1bbd, v16
	v_mul_f32_e32 v7, 0xbf4f1bbd, v17
	v_add_f32_e32 v0, v25, v15
	v_add_f32_e32 v2, v4, v24
	;; [unrolled: 1-line block ×4, first 2 shown]
	v_fmac_f32_e32 v6, 0x3f167918, v17
	v_fmac_f32_e32 v7, 0xbf167918, v16
	v_add_co_u32 v62, null, v198, 20
	ds_write_b128 v202, v[0:3] offset:16
	v_sub_f32_e32 v2, v55, v77
	v_sub_f32_e32 v3, v57, v78
	v_add_f32_e32 v0, v20, v6
	v_add_f32_e32 v1, v21, v7
	v_add_co_u32 v57, null, v198, 25
	ds_write_b128 v202, v[0:3] offset:32
	v_sub_f32_e32 v0, v22, v18
	v_sub_f32_e32 v2, v25, v15
	;; [unrolled: 1-line block ×4, first 2 shown]
	ds_write_b128 v202, v[0:3] offset:48
	v_sub_f32_e32 v1, v5, v11
	v_sub_f32_e32 v0, v4, v24
	;; [unrolled: 1-line block ×4, first 2 shown]
	ds_write_b128 v202, v[0:3] offset:64
	v_lshlrev_b32_e32 v0, 5, v198
	s_waitcnt lgkmcnt(0)
	s_barrier
	buffer_gl0_inv
	s_clause 0x1
	global_load_dwordx4 v[8:11], v0, s[10:11]
	global_load_dwordx4 v[4:7], v0, s[10:11] offset:16
	ds_read2_b64 v[14:17], v200 offset0:30 offset1:35
	s_waitcnt vmcnt(1) lgkmcnt(0)
	v_mul_f32_e32 v0, v15, v9
	v_mul_f32_e32 v75, v14, v9
	v_fma_f32 v76, v14, v8, -v0
	v_lshlrev_b32_e32 v0, 5, v53
	v_fmac_f32_e32 v75, v15, v8
	s_clause 0x1
	global_load_dwordx4 v[12:15], v0, s[10:11]
	global_load_dwordx4 v[0:3], v0, s[10:11] offset:16
	s_waitcnt vmcnt(1)
	v_mul_f32_e32 v18, v17, v13
	v_mul_f32_e32 v77, v16, v13
	v_fma_f32 v78, v16, v12, -v18
	v_fmac_f32_e32 v77, v17, v12
	ds_read2_b64 v[16:19], v200 offset0:60 offset1:65
	s_waitcnt lgkmcnt(0)
	v_mul_f32_e32 v20, v17, v11
	v_mul_f32_e32 v79, v16, v11
	;; [unrolled: 1-line block ×3, first 2 shown]
	v_fma_f32 v81, v16, v10, -v20
	v_mul_f32_e32 v16, v19, v15
	v_fmac_f32_e32 v79, v17, v10
	v_fmac_f32_e32 v80, v19, v14
	v_fma_f32 v82, v18, v14, -v16
	ds_read2_b64 v[16:19], v200 offset0:90 offset1:95
	s_waitcnt lgkmcnt(0)
	v_mul_f32_e32 v20, v17, v5
	v_mul_f32_e32 v83, v16, v5
	s_waitcnt vmcnt(0)
	v_mul_f32_e32 v84, v18, v1
	v_fma_f32 v85, v16, v4, -v20
	v_mul_f32_e32 v16, v19, v1
	v_fmac_f32_e32 v83, v17, v4
	v_fmac_f32_e32 v84, v19, v0
	v_sub_f32_e32 v113, v81, v85
	v_fma_f32 v86, v18, v0, -v16
	ds_read2_b64 v[16:19], v200 offset0:120 offset1:125
	v_sub_f32_e32 v112, v79, v83
	v_sub_f32_e32 v116, v80, v84
	;; [unrolled: 1-line block ×3, first 2 shown]
	s_waitcnt lgkmcnt(0)
	v_mul_f32_e32 v20, v17, v7
	v_mul_f32_e32 v87, v16, v7
	;; [unrolled: 1-line block ×3, first 2 shown]
	v_fma_f32 v89, v16, v6, -v20
	v_mul_f32_e32 v16, v19, v3
	v_fmac_f32_e32 v87, v17, v6
	v_fmac_f32_e32 v88, v19, v2
	v_sub_f32_e32 v117, v76, v89
	v_fma_f32 v90, v18, v2, -v16
	ds_read2_b64 v[16:19], v200 offset0:40 offset1:45
	v_sub_f32_e32 v115, v75, v87
	v_sub_f32_e32 v119, v77, v88
	v_sub_f32_e32 v120, v78, v90
	s_waitcnt lgkmcnt(0)
	v_mul_f32_e32 v20, v17, v9
	v_mul_f32_e32 v54, v16, v9
	v_mul_f32_e32 v58, v18, v13
	v_fma_f32 v55, v16, v8, -v20
	v_mul_f32_e32 v16, v19, v13
	v_fmac_f32_e32 v54, v17, v8
	v_fmac_f32_e32 v58, v19, v12
	v_fma_f32 v59, v18, v12, -v16
	ds_read2_b64 v[16:19], v200 offset0:70 offset1:75
	s_waitcnt lgkmcnt(0)
	v_mul_f32_e32 v20, v17, v11
	v_mul_f32_e32 v60, v16, v11
	v_mul_f32_e32 v61, v18, v15
	v_fma_f32 v63, v16, v10, -v20
	v_mul_f32_e32 v16, v19, v15
	v_fmac_f32_e32 v60, v17, v10
	v_fmac_f32_e32 v61, v19, v14
	v_fma_f32 v64, v18, v14, -v16
	ds_read2_b64 v[16:19], v200 offset0:100 offset1:105
	;; [unrolled: 10-line block ×3, first 2 shown]
	s_waitcnt lgkmcnt(0)
	v_mul_f32_e32 v20, v17, v7
	v_mul_f32_e32 v70, v16, v7
	v_mul_f32_e32 v71, v18, v3
	v_fma_f32 v72, v16, v6, -v20
	v_mul_f32_e32 v16, v19, v3
	v_fmac_f32_e32 v70, v17, v6
	v_and_b32_e32 v17, 0xff, v57
	v_fmac_f32_e32 v71, v19, v2
	v_fma_f32 v73, v18, v2, -v16
	v_and_b32_e32 v16, 0xff, v62
	v_mul_lo_u16 v17, 0xcd, v17
	v_mul_lo_u16 v16, 0xcd, v16
	v_lshrrev_b16 v17, 11, v17
	v_lshrrev_b16 v16, 11, v16
	v_mul_lo_u16 v16, v16, 10
	v_sub_nc_u16 v74, v62, v16
	v_mul_lo_u16 v16, v17, 10
	v_lshlrev_b16 v17, 2, v74
	v_sub_nc_u16 v65, v57, v16
	v_and_b32_e32 v17, 0xfc, v17
	v_lshlrev_b16 v16, 2, v65
	v_lshlrev_b32_e32 v20, 3, v17
	v_and_b32_e32 v24, 0xfc, v16
	s_clause 0x1
	global_load_dwordx4 v[16:19], v20, s[10:11]
	global_load_dwordx4 v[20:23], v20, s[10:11] offset:16
	ds_read2_b64 v[30:33], v200 offset0:50 offset1:55
	v_lshlrev_b32_e32 v24, 3, v24
	s_waitcnt vmcnt(1) lgkmcnt(0)
	v_mul_f32_e32 v25, v31, v17
	v_mul_f32_e32 v93, v30, v17
	v_fma_f32 v95, v30, v16, -v25
	v_fmac_f32_e32 v93, v31, v16
	s_clause 0x1
	global_load_dwordx4 v[28:31], v24, s[10:11]
	global_load_dwordx4 v[24:27], v24, s[10:11] offset:16
	s_waitcnt vmcnt(1)
	v_mul_f32_e32 v34, v33, v29
	v_mul_f32_e32 v91, v32, v29
	v_fma_f32 v92, v32, v28, -v34
	v_fmac_f32_e32 v91, v33, v28
	ds_read2_b64 v[32:35], v200 offset0:80 offset1:85
	s_waitcnt lgkmcnt(0)
	v_mul_f32_e32 v36, v33, v19
	v_mul_f32_e32 v99, v32, v19
	;; [unrolled: 1-line block ×3, first 2 shown]
	v_fma_f32 v101, v32, v18, -v36
	v_mul_f32_e32 v32, v35, v31
	v_fmac_f32_e32 v99, v33, v18
	v_fmac_f32_e32 v94, v35, v30
	v_fma_f32 v97, v34, v30, -v32
	ds_read2_b64 v[32:35], v200 offset0:110 offset1:115
	s_waitcnt lgkmcnt(0)
	v_mul_f32_e32 v36, v33, v21
	v_mul_f32_e32 v103, v32, v21
	s_waitcnt vmcnt(0)
	v_mul_f32_e32 v98, v34, v25
	v_fma_f32 v105, v32, v20, -v36
	v_mul_f32_e32 v32, v35, v25
	v_fmac_f32_e32 v103, v33, v20
	v_fmac_f32_e32 v98, v35, v24
	v_fma_f32 v100, v34, v24, -v32
	ds_read2_b64 v[32:35], v200 offset0:140 offset1:145
	s_waitcnt lgkmcnt(0)
	v_mul_f32_e32 v36, v33, v23
	v_mul_f32_e32 v106, v32, v23
	;; [unrolled: 1-line block ×3, first 2 shown]
	v_fma_f32 v107, v32, v22, -v36
	ds_read2_b64 v[36:39], v200 offset1:5
	v_mul_f32_e32 v32, v35, v27
	v_fmac_f32_e32 v106, v33, v22
	v_sub_f32_e32 v33, v85, v89
	v_fmac_f32_e32 v102, v35, v26
	v_fma_f32 v104, v34, v26, -v32
	v_sub_f32_e32 v32, v81, v76
	v_add_f32_e32 v108, v32, v33
	v_add_f32_e32 v32, v76, v89
	;; [unrolled: 1-line block ×3, first 2 shown]
	s_waitcnt lgkmcnt(0)
	v_fma_f32 v44, -0.5, v32, v36
	v_fma_f32 v45, -0.5, v33, v37
	v_sub_f32_e32 v32, v79, v75
	v_sub_f32_e32 v33, v83, v87
	v_add_f32_e32 v111, v38, v78
	v_add_f32_e32 v121, v39, v77
	v_fmamk_f32 v48, v112, 0xbf737871, v44
	v_fmac_f32_e32 v44, 0x3f737871, v112
	v_add_f32_e32 v109, v32, v33
	v_add_f32_e32 v32, v82, v86
	;; [unrolled: 1-line block ×3, first 2 shown]
	v_fmamk_f32 v49, v113, 0x3f737871, v45
	v_fmac_f32_e32 v45, 0xbf737871, v113
	v_fmac_f32_e32 v44, 0xbf167918, v115
	v_fma_f32 v46, -0.5, v32, v38
	v_fma_f32 v38, -0.5, v33, v38
	v_sub_f32_e32 v32, v82, v78
	v_sub_f32_e32 v33, v86, v90
	v_fmac_f32_e32 v45, 0x3f167918, v117
	v_fmac_f32_e32 v44, 0x3e9e377a, v108
	v_fmamk_f32 v50, v116, 0xbf737871, v38
	v_fmac_f32_e32 v38, 0x3f737871, v116
	v_add_f32_e32 v110, v32, v33
	v_add_f32_e32 v32, v80, v84
	v_sub_f32_e32 v33, v84, v88
	v_fmac_f32_e32 v45, 0x3e9e377a, v109
	v_fmac_f32_e32 v38, 0xbf167918, v119
	;; [unrolled: 1-line block ×3, first 2 shown]
	v_fma_f32 v47, -0.5, v32, v39
	v_add_f32_e32 v32, v77, v88
	v_fmac_f32_e32 v49, 0xbf167918, v117
	v_fmac_f32_e32 v38, 0x3e9e377a, v110
	v_fmac_f32_e32 v50, 0x3f167918, v119
	v_fmac_f32_e32 v48, 0x3e9e377a, v108
	v_fmac_f32_e32 v39, -0.5, v32
	v_sub_f32_e32 v32, v80, v77
	v_sub_f32_e32 v77, v77, v80
	v_fmac_f32_e32 v49, 0x3e9e377a, v109
	v_fmac_f32_e32 v50, 0x3e9e377a, v110
	v_fmamk_f32 v51, v118, 0x3f737871, v39
	v_fmac_f32_e32 v39, 0xbf737871, v118
	v_add_f32_e32 v114, v32, v33
	ds_read2_b64 v[40:43], v200 offset0:10 offset1:15
	ds_read2_b64 v[32:35], v200 offset0:20 offset1:25
	s_waitcnt lgkmcnt(0)
	s_barrier
	v_fmac_f32_e32 v39, 0x3f167918, v120
	buffer_gl0_inv
	v_fmac_f32_e32 v51, 0xbf167918, v120
	v_fmac_f32_e32 v39, 0x3e9e377a, v114
	;; [unrolled: 1-line block ×3, first 2 shown]
	ds_write2_b64 v200, v[44:45], v[38:39] offset0:30 offset1:35
	v_add_f32_e32 v38, v81, v85
	v_add_f32_e32 v39, v79, v83
	;; [unrolled: 1-line block ×4, first 2 shown]
	ds_write2_b64 v200, v[48:49], v[50:51] offset0:20 offset1:25
	v_fma_f32 v38, -0.5, v38, v36
	v_fma_f32 v39, -0.5, v39, v37
	v_add_f32_e32 v36, v36, v76
	v_add_f32_e32 v37, v37, v75
	;; [unrolled: 1-line block ×13, first 2 shown]
	ds_write2_b64 v200, v[36:37], v[44:45] offset1:5
	v_sub_f32_e32 v36, v76, v81
	v_sub_f32_e32 v37, v89, v85
	;; [unrolled: 1-line block ×7, first 2 shown]
	v_add_f32_e32 v79, v36, v37
	v_add_f32_e32 v80, v44, v45
	v_fmamk_f32 v36, v115, 0x3f737871, v38
	v_fmamk_f32 v37, v117, 0xbf737871, v39
	;; [unrolled: 1-line block ×4, first 2 shown]
	v_fmac_f32_e32 v38, 0xbf737871, v115
	v_fmac_f32_e32 v39, 0x3f737871, v117
	;; [unrolled: 1-line block ×4, first 2 shown]
	v_add_f32_e32 v75, v75, v76
	v_add_f32_e32 v76, v77, v78
	v_fmac_f32_e32 v38, 0xbf167918, v112
	v_fmac_f32_e32 v39, 0x3f167918, v113
	;; [unrolled: 1-line block ×13, first 2 shown]
	ds_write2_b64 v200, v[38:39], v[46:47] offset0:40 offset1:45
	v_sub_f32_e32 v38, v60, v54
	v_sub_f32_e32 v39, v66, v70
	v_fmac_f32_e32 v37, 0x3e9e377a, v80
	v_fmac_f32_e32 v44, 0x3e9e377a, v75
	;; [unrolled: 1-line block ×3, first 2 shown]
	v_add_f32_e32 v75, v43, v58
	v_add_f32_e32 v49, v38, v39
	;; [unrolled: 1-line block ×4, first 2 shown]
	ds_write2_b64 v200, v[36:37], v[44:45] offset0:10 offset1:15
	v_sub_f32_e32 v36, v63, v55
	v_sub_f32_e32 v37, v68, v72
	v_fma_f32 v38, -0.5, v38, v42
	v_fma_f32 v42, -0.5, v39, v42
	v_sub_f32_e32 v39, v64, v59
	v_sub_f32_e32 v44, v69, v73
	v_add_f32_e32 v48, v36, v37
	v_add_f32_e32 v36, v55, v72
	;; [unrolled: 1-line block ×3, first 2 shown]
	v_sub_f32_e32 v45, v67, v71
	v_add_f32_e32 v51, v39, v44
	v_add_f32_e32 v39, v61, v67
	;; [unrolled: 1-line block ×3, first 2 shown]
	v_fma_f32 v36, -0.5, v36, v40
	v_fma_f32 v37, -0.5, v37, v41
	v_sub_f32_e32 v77, v60, v66
	v_fma_f32 v39, -0.5, v39, v43
	v_fmac_f32_e32 v43, -0.5, v44
	v_sub_f32_e32 v44, v61, v58
	v_sub_f32_e32 v79, v63, v68
	;; [unrolled: 1-line block ×5, first 2 shown]
	v_add_f32_e32 v76, v44, v45
	v_fmamk_f32 v44, v77, 0xbf737871, v36
	v_fmac_f32_e32 v36, 0x3f737871, v77
	v_fmamk_f32 v45, v79, 0x3f737871, v37
	v_fmac_f32_e32 v37, 0xbf737871, v79
	v_sub_f32_e32 v80, v55, v72
	v_fmamk_f32 v46, v81, 0xbf737871, v42
	v_fmac_f32_e32 v42, 0x3f737871, v81
	v_sub_f32_e32 v82, v58, v71
	;; [unrolled: 3-line block ×3, first 2 shown]
	v_fmac_f32_e32 v36, 0xbf167918, v78
	v_fmac_f32_e32 v37, 0x3f167918, v80
	v_fmac_f32_e32 v42, 0xbf167918, v82
	v_fmac_f32_e32 v44, 0x3f167918, v78
	v_fmac_f32_e32 v43, 0x3f167918, v84
	v_fmac_f32_e32 v36, 0x3e9e377a, v48
	v_fmac_f32_e32 v37, 0x3e9e377a, v49
	v_fmac_f32_e32 v42, 0x3e9e377a, v51
	v_fmac_f32_e32 v45, 0xbf167918, v80
	v_fmac_f32_e32 v43, 0x3e9e377a, v76
	v_fmac_f32_e32 v46, 0x3f167918, v82
	v_fmac_f32_e32 v47, 0xbf167918, v84
	v_fmac_f32_e32 v44, 0x3e9e377a, v48
	v_fmac_f32_e32 v45, 0x3e9e377a, v49
	ds_write2_b64 v200, v[36:37], v[42:43] offset0:80 offset1:85
	v_add_f32_e32 v36, v63, v68
	v_add_f32_e32 v37, v60, v66
	;; [unrolled: 1-line block ×4, first 2 shown]
	v_sub_f32_e32 v50, v59, v64
	v_fma_f32 v36, -0.5, v36, v40
	v_fma_f32 v37, -0.5, v37, v41
	v_add_f32_e32 v40, v40, v55
	v_add_f32_e32 v41, v41, v54
	;; [unrolled: 1-line block ×4, first 2 shown]
	v_fmac_f32_e32 v46, 0x3e9e377a, v51
	v_add_f32_e32 v40, v40, v63
	v_add_f32_e32 v41, v41, v60
	;; [unrolled: 1-line block ×4, first 2 shown]
	v_fmac_f32_e32 v47, 0x3e9e377a, v76
	v_add_f32_e32 v40, v40, v68
	v_add_f32_e32 v41, v41, v66
	v_sub_f32_e32 v48, v98, v102
	v_sub_f32_e32 v49, v97, v100
	ds_write2_b64 v200, v[44:45], v[46:47] offset0:70 offset1:75
	v_add_f32_e32 v40, v40, v72
	v_add_f32_e32 v41, v41, v70
	v_sub_f32_e32 v44, v95, v107
	v_sub_f32_e32 v45, v94, v98
	;; [unrolled: 1-line block ×3, first 2 shown]
	v_add_f32_e32 v47, v35, v91
	ds_write2_b64 v200, v[40:41], v[42:43] offset0:50 offset1:55
	v_sub_f32_e32 v40, v55, v63
	v_sub_f32_e32 v41, v72, v68
	v_sub_f32_e32 v42, v54, v60
	v_sub_f32_e32 v43, v70, v66
	v_sub_f32_e32 v54, v73, v69
	v_sub_f32_e32 v55, v58, v61
	v_sub_f32_e32 v58, v71, v67
	v_add_f32_e32 v59, v40, v41
	v_add_f32_e32 v60, v42, v43
	v_fmamk_f32 v40, v78, 0x3f737871, v36
	v_fmamk_f32 v41, v80, 0xbf737871, v37
	;; [unrolled: 1-line block ×4, first 2 shown]
	v_fmac_f32_e32 v36, 0xbf737871, v78
	v_fmac_f32_e32 v37, 0x3f737871, v80
	;; [unrolled: 1-line block ×4, first 2 shown]
	v_add_f32_e32 v50, v50, v54
	v_add_f32_e32 v54, v55, v58
	v_fmac_f32_e32 v36, 0xbf167918, v77
	v_fmac_f32_e32 v37, 0x3f167918, v79
	;; [unrolled: 1-line block ×13, first 2 shown]
	ds_write2_b64 v200, v[36:37], v[38:39] offset0:90 offset1:95
	v_sub_f32_e32 v36, v101, v95
	v_sub_f32_e32 v37, v105, v107
	v_fmac_f32_e32 v41, 0x3e9e377a, v60
	v_fmac_f32_e32 v42, 0x3e9e377a, v50
	;; [unrolled: 1-line block ×3, first 2 shown]
	v_sub_f32_e32 v39, v99, v93
	v_add_f32_e32 v37, v36, v37
	v_add_f32_e32 v36, v95, v107
	v_sub_f32_e32 v50, v92, v104
	ds_write2_b64 v200, v[40:41], v[42:43] offset0:60 offset1:65
	v_sub_f32_e32 v40, v99, v103
	v_sub_f32_e32 v41, v93, v106
	v_fma_f32 v36, -0.5, v36, v32
	v_sub_f32_e32 v42, v103, v106
	v_sub_f32_e32 v43, v101, v105
	v_sub_f32_e32 v51, v106, v103
	v_fmamk_f32 v38, v40, 0xbf737871, v36
	v_fmac_f32_e32 v36, 0x3f737871, v40
	v_add_f32_e32 v42, v39, v42
	v_fmac_f32_e32 v38, 0x3f167918, v41
	v_fmac_f32_e32 v36, 0xbf167918, v41
	;; [unrolled: 1-line block ×4, first 2 shown]
	v_add_f32_e32 v37, v93, v106
	v_fma_f32 v37, -0.5, v37, v33
	v_fmamk_f32 v39, v43, 0x3f737871, v37
	v_fmac_f32_e32 v37, 0xbf737871, v43
	v_fmac_f32_e32 v39, 0xbf167918, v44
	;; [unrolled: 1-line block ×5, first 2 shown]
	v_and_b32_e32 v42, 0xff, v74
	v_lshl_add_u32 v205, v42, 3, v52
	v_add_f32_e32 v42, v34, v92
	ds_write2_b64 v205, v[38:39], v[36:37] offset0:120 offset1:130
	v_add_f32_e32 v36, v97, v100
	v_add_f32_e32 v37, v92, v104
	v_sub_f32_e32 v38, v100, v104
	v_add_f32_e32 v39, v91, v102
	v_fma_f32 v36, -0.5, v36, v34
	v_fma_f32 v34, -0.5, v37, v34
	v_sub_f32_e32 v37, v97, v92
	v_add_f32_e32 v37, v37, v38
	v_fmamk_f32 v38, v45, 0xbf737871, v34
	v_fmac_f32_e32 v34, 0x3f737871, v45
	v_fmac_f32_e32 v38, 0x3f167918, v46
	;; [unrolled: 1-line block ×5, first 2 shown]
	v_add_f32_e32 v37, v94, v98
	v_fma_f32 v37, -0.5, v37, v35
	v_fmac_f32_e32 v35, -0.5, v39
	v_sub_f32_e32 v39, v94, v91
	v_add_f32_e32 v48, v39, v48
	v_fmamk_f32 v39, v49, 0x3f737871, v35
	v_fmac_f32_e32 v35, 0xbf737871, v49
	v_fmac_f32_e32 v39, 0xbf167918, v50
	;; [unrolled: 1-line block ×5, first 2 shown]
	v_and_b32_e32 v48, 0xff, v65
	v_lshl_add_u32 v206, v48, 3, v52
	v_sub_f32_e32 v48, v93, v99
	ds_write2_b64 v206, v[38:39], v[34:35] offset0:120 offset1:130
	v_add_f32_e32 v34, v101, v105
	v_add_f32_e32 v35, v99, v103
	v_sub_f32_e32 v38, v95, v101
	v_sub_f32_e32 v39, v107, v105
	v_add_f32_e32 v48, v48, v51
	v_fma_f32 v34, -0.5, v34, v32
	v_fma_f32 v35, -0.5, v35, v33
	v_add_f32_e32 v32, v32, v95
	v_add_f32_e32 v33, v33, v93
	;; [unrolled: 1-line block ×3, first 2 shown]
	v_fmamk_f32 v38, v41, 0x3f737871, v34
	v_fmamk_f32 v39, v44, 0xbf737871, v35
	v_add_f32_e32 v32, v32, v101
	v_add_f32_e32 v33, v33, v99
	v_fmac_f32_e32 v34, 0xbf737871, v41
	v_fmac_f32_e32 v38, 0x3f167918, v40
	;; [unrolled: 1-line block ×3, first 2 shown]
	v_add_f32_e32 v32, v32, v105
	v_add_f32_e32 v33, v33, v103
	v_fmac_f32_e32 v35, 0x3f737871, v44
	v_fmac_f32_e32 v38, 0x3e9e377a, v52
	;; [unrolled: 1-line block ×3, first 2 shown]
	v_add_f32_e32 v32, v32, v107
	v_add_f32_e32 v33, v33, v106
	v_fmac_f32_e32 v34, 0xbf167918, v40
	v_fmac_f32_e32 v35, 0x3f167918, v43
	ds_write2_b64 v205, v[32:33], v[38:39] offset0:100 offset1:110
	v_sub_f32_e32 v38, v92, v97
	v_sub_f32_e32 v39, v104, v100
	v_add_f32_e32 v32, v42, v97
	v_add_f32_e32 v33, v47, v94
	v_sub_f32_e32 v42, v91, v94
	v_sub_f32_e32 v47, v102, v98
	v_add_f32_e32 v51, v38, v39
	v_fmamk_f32 v38, v46, 0x3f737871, v36
	v_fmamk_f32 v39, v50, 0xbf737871, v37
	v_add_f32_e32 v32, v32, v100
	v_add_f32_e32 v33, v33, v98
	;; [unrolled: 1-line block ×3, first 2 shown]
	v_fmac_f32_e32 v38, 0x3f167918, v45
	v_fmac_f32_e32 v39, 0xbf167918, v49
	;; [unrolled: 1-line block ×4, first 2 shown]
	v_add_f32_e32 v32, v32, v104
	v_add_f32_e32 v33, v33, v102
	v_fmac_f32_e32 v38, 0x3e9e377a, v51
	v_fmac_f32_e32 v39, 0x3e9e377a, v42
	;; [unrolled: 1-line block ×6, first 2 shown]
	ds_write2_b64 v206, v[32:33], v[38:39] offset0:100 offset1:110
	v_fmac_f32_e32 v36, 0x3e9e377a, v51
	v_fmac_f32_e32 v37, 0x3e9e377a, v42
	v_lshlrev_b32_e32 v32, 4, v53
	v_lshlrev_b32_e32 v97, 4, v198
	ds_write_b64 v205, v[34:35] offset:1120
	ds_write_b64 v206, v[36:37] offset:1120
	s_waitcnt lgkmcnt(0)
	s_barrier
	buffer_gl0_inv
	s_clause 0x1
	global_load_dwordx4 v[32:35], v32, s[10:11] offset:320
	global_load_dwordx4 v[36:39], v97, s[10:11] offset:320
	ds_read2_b64 v[40:43], v200 offset0:50 offset1:55
	s_waitcnt vmcnt(0) lgkmcnt(0)
	v_mul_f32_e32 v44, v41, v37
	v_mul_f32_e32 v51, v40, v37
	v_fma_f32 v50, v40, v36, -v44
	v_fmac_f32_e32 v51, v41, v36
	v_mul_f32_e32 v40, v43, v33
	v_mul_f32_e32 v41, v42, v33
	v_fma_f32 v40, v42, v32, -v40
	v_fmac_f32_e32 v41, v43, v32
	ds_read2_b64 v[42:45], v200 offset0:100 offset1:105
	s_waitcnt lgkmcnt(0)
	v_mul_f32_e32 v46, v43, v39
	v_mul_f32_e32 v53, v42, v39
	v_fma_f32 v52, v42, v38, -v46
	ds_read2_b64 v[46:49], v200 offset1:5
	v_fmac_f32_e32 v53, v43, v38
	v_mul_f32_e32 v43, v44, v35
	v_mul_f32_e32 v42, v45, v35
	v_sub_f32_e32 v106, v50, v52
	v_sub_f32_e32 v63, v51, v53
	v_fmac_f32_e32 v43, v45, v34
	v_fma_f32 v42, v44, v34, -v42
	s_waitcnt lgkmcnt(0)
	v_add_f32_e32 v45, v47, v51
	v_add_f32_e32 v51, v51, v53
	;; [unrolled: 1-line block ×5, first 2 shown]
	v_fma_f32 v47, -0.5, v51, v47
	v_add_f32_e32 v44, v44, v52
	v_fma_f32 v46, -0.5, v53, v46
	v_fmamk_f32 v51, v106, 0xbf5db3d7, v47
	v_fmac_f32_e32 v47, 0x3f5db3d7, v106
	ds_read2_b64 v[58:61], v200 offset0:10 offset1:15
	ds_read2_b64 v[98:101], v200 offset0:60 offset1:65
	;; [unrolled: 1-line block ×12, first 2 shown]
	v_fmamk_f32 v50, v63, 0x3f5db3d7, v46
	v_fmac_f32_e32 v46, 0xbf5db3d7, v63
	ds_write_b64 v200, v[50:51] offset:400
	ds_write_b64 v200, v[46:47] offset:800
	v_add_f32_e32 v46, v48, v40
	v_add_f32_e32 v47, v49, v41
	;; [unrolled: 1-line block ×4, first 2 shown]
	ds_write2_b64 v200, v[44:45], v[46:47] offset1:5
	v_add_f32_e32 v44, v40, v42
	v_sub_f32_e32 v40, v40, v42
	v_fma_f32 v48, -0.5, v44, v48
	v_add_f32_e32 v44, v41, v43
	v_sub_f32_e32 v41, v41, v43
	v_fmac_f32_e32 v49, -0.5, v44
	v_fmamk_f32 v50, v41, 0x3f5db3d7, v48
	v_fmac_f32_e32 v48, 0xbf5db3d7, v41
	v_add_nc_u32_e32 v41, 0xf0, v97
	v_fmamk_f32 v51, v40, 0xbf5db3d7, v49
	v_fmac_f32_e32 v49, 0x3f5db3d7, v40
	v_lshlrev_b32_e32 v40, 4, v56
	s_clause 0x1
	global_load_dwordx4 v[44:47], v40, s[10:11] offset:320
	global_load_dwordx4 v[40:43], v41, s[10:11] offset:320
	s_waitcnt vmcnt(1) lgkmcnt(13)
	v_mul_f32_e32 v56, v99, v45
	v_mul_f32_e32 v63, v98, v45
	s_waitcnt lgkmcnt(12)
	v_mul_f32_e32 v107, v102, v47
	v_fma_f32 v56, v98, v44, -v56
	v_mul_f32_e32 v98, v103, v47
	v_fmac_f32_e32 v63, v99, v44
	v_fmac_f32_e32 v107, v103, v46
	v_fma_f32 v106, v102, v46, -v98
	v_sub_f32_e32 v99, v63, v107
	v_add_f32_e32 v98, v56, v106
	v_sub_f32_e32 v108, v56, v106
	v_fma_f32 v98, -0.5, v98, v58
	v_fmamk_f32 v102, v99, 0x3f5db3d7, v98
	v_fmac_f32_e32 v98, 0xbf5db3d7, v99
	v_add_f32_e32 v99, v63, v107
	v_fma_f32 v99, -0.5, v99, v59
	v_fmamk_f32 v103, v108, 0xbf5db3d7, v99
	v_fmac_f32_e32 v99, 0x3f5db3d7, v108
	ds_write2_b64 v200, v[50:51], v[102:103] offset0:55 offset1:60
	ds_write2_b64 v200, v[48:49], v[98:99] offset0:105 offset1:110
	s_waitcnt vmcnt(0)
	v_mul_f32_e32 v48, v101, v41
	v_mul_f32_e32 v99, v100, v41
	v_add_f32_e32 v49, v59, v63
	v_fma_f32 v98, v100, v40, -v48
	v_fmac_f32_e32 v99, v101, v40
	v_mul_f32_e32 v48, v105, v43
	v_mul_f32_e32 v101, v104, v43
	v_add_f32_e32 v49, v49, v107
	v_add_f32_e32 v50, v60, v98
	;; [unrolled: 1-line block ×3, first 2 shown]
	v_fma_f32 v100, v104, v42, -v48
	v_fmac_f32_e32 v101, v105, v42
	v_add_f32_e32 v48, v58, v56
	v_add_f32_e32 v50, v50, v100
	;; [unrolled: 1-line block ×4, first 2 shown]
	ds_write2_b64 v200, v[48:49], v[50:51] offset0:10 offset1:15
	v_add_f32_e32 v48, v98, v100
	v_lshlrev_b32_e32 v49, 4, v57
	v_sub_f32_e32 v98, v98, v100
	v_fma_f32 v60, -0.5, v48, v60
	v_add_f32_e32 v48, v99, v101
	v_sub_f32_e32 v99, v99, v101
	v_fmac_f32_e32 v61, -0.5, v48
	v_lshlrev_b32_e32 v48, 4, v62
	s_clause 0x1
	global_load_dwordx4 v[56:59], v48, s[10:11] offset:320
	global_load_dwordx4 v[48:51], v49, s[10:11] offset:320
	v_fmamk_f32 v63, v98, 0xbf5db3d7, v61
	v_fmac_f32_e32 v61, 0x3f5db3d7, v98
	s_waitcnt vmcnt(1) lgkmcnt(13)
	v_mul_f32_e32 v62, v93, v57
	v_mul_f32_e32 v101, v92, v57
	s_waitcnt lgkmcnt(12)
	v_mul_f32_e32 v103, v52, v59
	v_fma_f32 v100, v92, v56, -v62
	v_mul_f32_e32 v62, v53, v59
	v_fmac_f32_e32 v101, v93, v56
	v_fmac_f32_e32 v103, v53, v58
	v_fma_f32 v102, v52, v58, -v62
	v_fmamk_f32 v62, v99, 0x3f5db3d7, v60
	v_add_f32_e32 v53, v101, v103
	v_sub_f32_e32 v104, v101, v103
	v_fmac_f32_e32 v60, 0xbf5db3d7, v99
	v_add_f32_e32 v52, v100, v102
	v_sub_f32_e32 v105, v100, v102
	v_fma_f32 v53, -0.5, v53, v65
	v_add_f32_e32 v65, v65, v101
	v_fma_f32 v52, -0.5, v52, v64
	v_add_f32_e32 v64, v64, v100
	v_fmamk_f32 v93, v105, 0xbf5db3d7, v53
	v_fmac_f32_e32 v53, 0x3f5db3d7, v105
	v_add_f32_e32 v65, v65, v103
	v_fmamk_f32 v92, v104, 0x3f5db3d7, v52
	v_fmac_f32_e32 v52, 0xbf5db3d7, v104
	v_add_f32_e32 v64, v64, v102
	ds_write2_b64 v200, v[62:63], v[92:93] offset0:65 offset1:70
	ds_write2_b64 v200, v[60:61], v[52:53] offset0:115 offset1:120
	s_waitcnt vmcnt(0)
	v_mul_f32_e32 v52, v95, v49
	v_mul_f32_e32 v93, v94, v49
	v_add_nc_u32_e32 v53, 0x230, v97
	v_fma_f32 v92, v94, v48, -v52
	v_mul_f32_e32 v52, v55, v51
	v_fmac_f32_e32 v93, v95, v48
	v_mul_f32_e32 v95, v54, v51
	v_add_f32_e32 v106, v66, v92
	v_fma_f32 v94, v54, v50, -v52
	v_add_nc_u32_e32 v52, 0x1e0, v97
	v_fmac_f32_e32 v95, v55, v50
	s_clause 0x1
	global_load_dwordx4 v[60:63], v52, s[10:11] offset:320
	global_load_dwordx4 v[52:55], v53, s[10:11] offset:320
	s_waitcnt vmcnt(1) lgkmcnt(12)
	v_mul_f32_e32 v98, v89, v61
	v_mul_f32_e32 v99, v88, v61
	s_waitcnt vmcnt(0)
	v_mul_f32_e32 v105, v90, v53
	s_waitcnt lgkmcnt(11)
	v_mul_f32_e32 v107, v68, v63
	v_fma_f32 v98, v88, v60, -v98
	v_mul_f32_e32 v88, v91, v53
	v_fmac_f32_e32 v99, v89, v60
	v_sub_f32_e32 v89, v93, v95
	v_fmac_f32_e32 v107, v69, v62
	v_fmac_f32_e32 v105, v91, v52
	v_fma_f32 v104, v90, v52, -v88
	v_add_f32_e32 v88, v92, v94
	v_sub_f32_e32 v90, v92, v94
	v_fma_f32 v66, -0.5, v88, v66
	v_fmamk_f32 v88, v89, 0x3f5db3d7, v66
	v_fmac_f32_e32 v66, 0xbf5db3d7, v89
	v_add_f32_e32 v89, v93, v95
	v_add_f32_e32 v93, v67, v93
	v_fmac_f32_e32 v67, -0.5, v89
	v_fmamk_f32 v89, v90, 0xbf5db3d7, v67
	v_fmac_f32_e32 v67, 0x3f5db3d7, v90
	v_mul_f32_e32 v90, v69, v63
	v_sub_f32_e32 v69, v99, v107
	v_fma_f32 v92, v68, v62, -v90
	v_add_f32_e32 v68, v98, v92
	v_sub_f32_e32 v108, v98, v92
	v_fma_f32 v68, -0.5, v68, v80
	v_fmamk_f32 v90, v69, 0x3f5db3d7, v68
	v_fmac_f32_e32 v68, 0xbf5db3d7, v69
	v_add_f32_e32 v69, v99, v107
	v_fma_f32 v69, -0.5, v69, v81
	v_fmamk_f32 v91, v108, 0xbf5db3d7, v69
	v_fmac_f32_e32 v69, 0x3f5db3d7, v108
	ds_write2_b64 v200, v[66:67], v[68:69] offset0:125 offset1:130
	v_mul_f32_e32 v66, v71, v55
	v_mul_f32_e32 v69, v70, v55
	v_add_f32_e32 v67, v93, v95
	v_fma_f32 v68, v70, v54, -v66
	v_add_f32_e32 v66, v106, v94
	v_fmac_f32_e32 v69, v71, v54
	ds_write2_b64 v200, v[64:65], v[66:67] offset0:20 offset1:25
	ds_write2_b64 v200, v[88:89], v[90:91] offset0:75 offset1:80
	v_add_f32_e32 v64, v80, v98
	v_add_f32_e32 v65, v81, v99
	;; [unrolled: 1-line block ×8, first 2 shown]
	ds_write2_b64 v200, v[64:65], v[66:67] offset0:30 offset1:35
	v_add_f32_e32 v64, v104, v68
	v_sub_f32_e32 v65, v105, v69
	v_fma_f32 v82, -0.5, v64, v82
	v_add_f32_e32 v64, v105, v69
	v_fmamk_f32 v80, v65, 0x3f5db3d7, v82
	v_fmac_f32_e32 v83, -0.5, v64
	v_sub_f32_e32 v64, v104, v68
	v_fmac_f32_e32 v82, 0xbf5db3d7, v65
	v_lshlrev_b32_e32 v65, 4, v199
	v_fmamk_f32 v81, v64, 0xbf5db3d7, v83
	v_fmac_f32_e32 v83, 0x3f5db3d7, v64
	v_add_nc_u32_e32 v64, 0x2d0, v97
	s_clause 0x1
	global_load_dwordx4 v[68:71], v65, s[10:11] offset:320
	global_load_dwordx4 v[64:67], v64, s[10:11] offset:320
	s_waitcnt vmcnt(1) lgkmcnt(13)
	v_mul_f32_e32 v88, v85, v69
	v_mul_f32_e32 v89, v84, v69
	s_waitcnt lgkmcnt(12)
	v_mul_f32_e32 v91, v76, v71
	v_fma_f32 v88, v84, v68, -v88
	v_mul_f32_e32 v84, v77, v71
	v_fmac_f32_e32 v89, v85, v68
	v_fmac_f32_e32 v91, v77, v70
	v_fma_f32 v90, v76, v70, -v84
	v_sub_f32_e32 v77, v89, v91
	v_add_f32_e32 v76, v88, v90
	v_sub_f32_e32 v92, v88, v90
	v_fma_f32 v76, -0.5, v76, v72
	v_add_f32_e32 v72, v72, v88
	v_fmamk_f32 v84, v77, 0x3f5db3d7, v76
	v_fmac_f32_e32 v76, 0xbf5db3d7, v77
	v_add_f32_e32 v77, v89, v91
	v_add_f32_e32 v72, v72, v90
	v_fma_f32 v77, -0.5, v77, v73
	v_add_f32_e32 v73, v73, v89
	v_fmamk_f32 v85, v92, 0xbf5db3d7, v77
	v_fmac_f32_e32 v77, 0x3f5db3d7, v92
	v_add_f32_e32 v73, v73, v91
	ds_write2_b64 v200, v[80:81], v[84:85] offset0:85 offset1:90
	ds_write2_b64 v200, v[82:83], v[76:77] offset0:135 offset1:140
	s_waitcnt vmcnt(0)
	v_mul_f32_e32 v76, v87, v65
	v_mul_f32_e32 v83, v86, v65
	v_fma_f32 v82, v86, v64, -v76
	v_mul_f32_e32 v76, v79, v67
	v_fmac_f32_e32 v83, v87, v64
	v_fma_f32 v86, v78, v66, -v76
	v_mul_f32_e32 v78, v78, v67
	v_add_f32_e32 v76, v74, v82
	v_add_f32_e32 v77, v75, v83
	v_fmac_f32_e32 v78, v79, v66
	v_add_f32_e32 v76, v76, v86
	v_add_f32_e32 v77, v77, v78
	ds_write2_b64 v200, v[72:73], v[76:77] offset0:40 offset1:45
	v_add_f32_e32 v72, v82, v86
	v_sub_f32_e32 v73, v83, v78
	v_sub_f32_e32 v76, v82, v86
	v_fma_f32 v74, -0.5, v72, v74
	v_add_f32_e32 v72, v83, v78
	v_fmac_f32_e32 v75, -0.5, v72
	v_fmamk_f32 v72, v73, 0x3f5db3d7, v74
	v_fmac_f32_e32 v74, 0xbf5db3d7, v73
	v_fmamk_f32 v73, v76, 0xbf5db3d7, v75
	v_fmac_f32_e32 v75, 0x3f5db3d7, v76
	ds_write_b64 v200, v[74:75] offset:1160
	ds_write_b64 v200, v[72:73] offset:760
	s_waitcnt lgkmcnt(0)
	s_barrier
	buffer_gl0_inv
	s_clause 0x1
	global_load_dwordx2 v[72:73], v96, s[8:9] offset:1200
	global_load_dwordx2 v[78:79], v96, s[6:7] offset:1160
	ds_read2_b64 v[74:77], v200 offset1:5
	s_mul_i32 s8, s1, 0xfffffbf0
	s_sub_i32 s8, s8, s0
	s_waitcnt vmcnt(1) lgkmcnt(0)
	v_mul_f32_e32 v80, v75, v73
	v_mul_f32_e32 v81, v74, v73
	v_fma_f32 v80, v74, v72, -v80
	v_fmac_f32_e32 v81, v75, v72
	s_clause 0x2
	global_load_dwordx2 v[72:73], v96, s[6:7] offset:40
	global_load_dwordx2 v[82:83], v96, s[6:7] offset:160
	;; [unrolled: 1-line block ×3, first 2 shown]
	s_waitcnt vmcnt(2)
	v_mul_f32_e32 v74, v77, v73
	v_mul_f32_e32 v87, v76, v73
	v_fma_f32 v86, v76, v72, -v74
	v_fmac_f32_e32 v87, v77, v72
	s_clause 0x3
	global_load_dwordx2 v[76:77], v96, s[6:7] offset:240
	global_load_dwordx2 v[88:89], v96, s[6:7] offset:280
	;; [unrolled: 1-line block ×4, first 2 shown]
	ds_read2_b64 v[72:75], v200 offset0:30 offset1:35
	s_waitcnt vmcnt(3) lgkmcnt(0)
	v_mul_f32_e32 v94, v73, v77
	v_mul_f32_e32 v95, v72, v77
	s_waitcnt vmcnt(2)
	v_mul_f32_e32 v77, v74, v89
	v_fma_f32 v94, v72, v76, -v94
	v_mul_f32_e32 v72, v75, v89
	v_fmac_f32_e32 v95, v73, v76
	v_fmac_f32_e32 v77, v75, v88
	v_fma_f32 v76, v74, v88, -v72
	s_clause 0x1
	global_load_dwordx2 v[88:89], v96, s[6:7] offset:480
	global_load_dwordx2 v[97:98], v96, s[6:7] offset:440
	ds_read2_b64 v[72:75], v200 offset0:60 offset1:65
	s_waitcnt vmcnt(1) lgkmcnt(0)
	v_mul_f32_e32 v99, v73, v89
	v_mul_f32_e32 v100, v72, v89
	v_fma_f32 v99, v72, v88, -v99
	v_fmac_f32_e32 v100, v73, v88
	s_clause 0x6
	global_load_dwordx2 v[72:73], v96, s[6:7] offset:520
	global_load_dwordx2 v[88:89], v96, s[6:7] offset:640
	;; [unrolled: 1-line block ×7, first 2 shown]
	s_waitcnt vmcnt(6)
	v_mul_f32_e32 v103, v75, v73
	v_mul_f32_e32 v104, v74, v73
	v_fma_f32 v103, v74, v72, -v103
	v_fmac_f32_e32 v104, v75, v72
	ds_read2_b64 v[72:75], v200 offset0:90 offset1:95
	s_waitcnt vmcnt(3) lgkmcnt(0)
	v_mul_f32_e32 v113, v73, v106
	v_mul_f32_e32 v114, v72, v106
	s_waitcnt vmcnt(2)
	v_mul_f32_e32 v106, v74, v108
	v_fma_f32 v113, v72, v105, -v113
	v_mul_f32_e32 v72, v75, v108
	v_fmac_f32_e32 v114, v73, v105
	v_fmac_f32_e32 v106, v75, v107
	v_fma_f32 v105, v74, v107, -v72
	s_clause 0x1
	global_load_dwordx2 v[107:108], v96, s[6:7] offset:960
	global_load_dwordx2 v[115:116], v96, s[6:7] offset:920
	ds_read2_b64 v[72:75], v200 offset0:120 offset1:125
	s_waitcnt vmcnt(1) lgkmcnt(0)
	v_mul_f32_e32 v117, v73, v108
	v_mul_f32_e32 v118, v72, v108
	v_fma_f32 v117, v72, v107, -v117
	v_fmac_f32_e32 v118, v73, v107
	s_clause 0x3
	global_load_dwordx2 v[72:73], v96, s[6:7] offset:1000
	global_load_dwordx2 v[107:108], v96, s[6:7] offset:1120
	;; [unrolled: 1-line block ×4, first 2 shown]
	s_waitcnt vmcnt(3)
	v_mul_f32_e32 v121, v75, v73
	v_mul_f32_e32 v122, v74, v73
	v_fma_f32 v121, v74, v72, -v121
	v_fmac_f32_e32 v122, v75, v72
	ds_read2_b64 v[72:75], v200 offset0:10 offset1:15
	s_waitcnt vmcnt(0) lgkmcnt(0)
	v_mul_f32_e32 v125, v75, v124
	v_mul_f32_e32 v126, v74, v124
	v_mul_f32_e32 v124, v72, v85
	v_fma_f32 v125, v74, v123, -v125
	v_mul_f32_e32 v74, v73, v85
	v_fmac_f32_e32 v126, v75, v123
	v_fmac_f32_e32 v124, v73, v84
	v_fma_f32 v123, v72, v84, -v74
	ds_read2_b64 v[72:75], v200 offset0:20 offset1:25
	s_waitcnt lgkmcnt(0)
	v_mul_f32_e32 v84, v73, v83
	v_mul_f32_e32 v85, v72, v83
	;; [unrolled: 1-line block ×3, first 2 shown]
	v_fma_f32 v84, v72, v82, -v84
	v_mul_f32_e32 v72, v75, v93
	v_fmac_f32_e32 v85, v73, v82
	v_fmac_f32_e32 v83, v75, v92
	v_fma_f32 v82, v74, v92, -v72
	s_clause 0x1
	global_load_dwordx2 v[92:93], v96, s[6:7] offset:360
	global_load_dwordx2 v[127:128], v96, s[6:7] offset:400
	ds_read2_b64 v[72:75], v200 offset0:40 offset1:45
	s_waitcnt vmcnt(1) lgkmcnt(0)
	v_mul_f32_e32 v129, v75, v93
	v_mul_f32_e32 v130, v74, v93
	;; [unrolled: 1-line block ×3, first 2 shown]
	v_fma_f32 v129, v74, v92, -v129
	v_mul_f32_e32 v74, v73, v91
	v_fmac_f32_e32 v130, v75, v92
	v_fmac_f32_e32 v93, v73, v90
	v_fma_f32 v92, v72, v90, -v74
	ds_read2_b64 v[72:75], v200 offset0:50 offset1:55
	s_waitcnt vmcnt(0) lgkmcnt(0)
	v_mul_f32_e32 v90, v73, v128
	v_mul_f32_e32 v91, v72, v128
	;; [unrolled: 1-line block ×3, first 2 shown]
	v_fma_f32 v90, v72, v127, -v90
	v_mul_f32_e32 v72, v75, v98
	v_fmac_f32_e32 v91, v73, v127
	v_fmac_f32_e32 v128, v75, v97
	v_fma_f32 v127, v74, v97, -v72
	global_load_dwordx2 v[97:98], v96, s[6:7] offset:600
	ds_read2_b64 v[72:75], v200 offset0:70 offset1:75
	s_waitcnt vmcnt(0) lgkmcnt(0)
	v_mul_f32_e32 v131, v75, v98
	v_mul_f32_e32 v132, v74, v98
	;; [unrolled: 1-line block ×3, first 2 shown]
	v_fma_f32 v131, v74, v97, -v131
	v_mul_f32_e32 v74, v73, v102
	v_fmac_f32_e32 v132, v75, v97
	v_fmac_f32_e32 v98, v73, v101
	v_fma_f32 v97, v72, v101, -v74
	ds_read2_b64 v[72:75], v200 offset0:80 offset1:85
	s_waitcnt lgkmcnt(0)
	v_mul_f32_e32 v101, v73, v89
	v_mul_f32_e32 v102, v72, v89
	;; [unrolled: 1-line block ×3, first 2 shown]
	v_fma_f32 v101, v72, v88, -v101
	v_mul_f32_e32 v72, v75, v112
	v_fmac_f32_e32 v102, v73, v88
	v_fmac_f32_e32 v89, v75, v111
	v_fma_f32 v88, v74, v111, -v72
	s_clause 0x1
	global_load_dwordx2 v[111:112], v96, s[6:7] offset:840
	global_load_dwordx2 v[133:134], v96, s[6:7] offset:880
	ds_read2_b64 v[72:75], v200 offset0:100 offset1:105
	s_waitcnt vmcnt(1) lgkmcnt(0)
	v_mul_f32_e32 v135, v75, v112
	v_mul_f32_e32 v208, v74, v112
	;; [unrolled: 1-line block ×3, first 2 shown]
	v_fma_f32 v207, v74, v111, -v135
	v_mul_f32_e32 v74, v73, v110
	v_fmac_f32_e32 v208, v75, v111
	v_fmac_f32_e32 v112, v73, v109
	v_fma_f32 v111, v72, v109, -v74
	ds_read2_b64 v[72:75], v200 offset0:110 offset1:115
	s_waitcnt vmcnt(0) lgkmcnt(0)
	v_mul_f32_e32 v109, v73, v134
	v_mul_f32_e32 v110, v72, v134
	;; [unrolled: 1-line block ×3, first 2 shown]
	v_fma_f32 v109, v72, v133, -v109
	v_mul_f32_e32 v72, v75, v116
	v_fmac_f32_e32 v110, v73, v133
	v_fmac_f32_e32 v134, v75, v115
	v_fma_f32 v133, v74, v115, -v72
	global_load_dwordx2 v[115:116], v96, s[6:7] offset:1080
	ds_read2_b64 v[72:75], v200 offset0:130 offset1:135
	s_mul_i32 s6, s1, 0xf0
	s_mul_hi_u32 s7, s0, 0xf0
	s_add_i32 s6, s7, s6
	s_mul_i32 s7, s0, 0xf0
	s_waitcnt vmcnt(0) lgkmcnt(0)
	v_mul_f32_e32 v96, v75, v116
	v_mul_f32_e32 v210, v74, v116
	;; [unrolled: 1-line block ×3, first 2 shown]
	v_fma_f32 v209, v74, v115, -v96
	v_mul_f32_e32 v74, v73, v120
	v_fmac_f32_e32 v210, v75, v115
	v_fmac_f32_e32 v116, v73, v119
	v_fma_f32 v115, v72, v119, -v74
	ds_read2_b64 v[72:75], v200 offset0:140 offset1:145
	s_waitcnt lgkmcnt(0)
	v_mul_f32_e32 v96, v73, v108
	v_mul_f32_e32 v120, v72, v108
	v_fma_f32 v119, v72, v107, -v96
	v_fmac_f32_e32 v120, v73, v107
	v_mul_f32_e32 v72, v75, v79
	v_mul_f32_e32 v73, v74, v79
	v_fma_f32 v72, v74, v78, -v72
	v_fmac_f32_e32 v73, v75, v78
	ds_write2_b64 v200, v[80:81], v[86:87] offset1:5
	ds_write2_b64 v200, v[94:95], v[76:77] offset0:30 offset1:35
	ds_write2_b64 v200, v[99:100], v[103:104] offset0:60 offset1:65
	;; [unrolled: 1-line block ×14, first 2 shown]
	s_waitcnt lgkmcnt(0)
	s_barrier
	buffer_gl0_inv
	ds_read2_b64 v[92:95], v200 offset0:30 offset1:35
	ds_read2_b64 v[96:99], v200 offset0:60 offset1:65
	;; [unrolled: 1-line block ×8, first 2 shown]
	ds_read2_b64 v[128:131], v200 offset1:5
	s_waitcnt lgkmcnt(7)
	v_sub_f32_e32 v72, v92, v96
	s_waitcnt lgkmcnt(5)
	v_sub_f32_e32 v73, v104, v108
	s_waitcnt lgkmcnt(2)
	v_add_f32_e32 v100, v82, v90
	s_waitcnt lgkmcnt(1)
	v_sub_f32_e32 v219, v78, v86
	v_sub_f32_e32 v216, v82, v90
	;; [unrolled: 1-line block ×3, first 2 shown]
	v_add_f32_e32 v207, v72, v73
	v_sub_f32_e32 v72, v93, v97
	v_sub_f32_e32 v73, v105, v109
	;; [unrolled: 1-line block ×6, first 2 shown]
	v_add_f32_e32 v208, v72, v73
	v_sub_f32_e32 v72, v78, v82
	v_sub_f32_e32 v73, v86, v90
	;; [unrolled: 1-line block ×3, first 2 shown]
	v_add_f32_e32 v103, v97, v109
	v_add_f32_e32 v209, v72, v73
	v_sub_f32_e32 v72, v79, v83
	v_sub_f32_e32 v73, v87, v91
	s_waitcnt lgkmcnt(0)
	v_fma_f32 v218, -0.5, v103, v129
	v_add_f32_e32 v212, v72, v73
	ds_read2_b64 v[72:75], v200 offset0:10 offset1:15
	v_fmamk_f32 v222, v227, 0x3f737871, v218
	v_fmac_f32_e32 v218, 0xbf737871, v227
	v_fmac_f32_e32 v222, 0x3f167918, v226
	;; [unrolled: 1-line block ×5, first 2 shown]
	s_waitcnt lgkmcnt(0)
	v_fma_f32 v210, -0.5, v100, v74
	v_add_f32_e32 v100, v83, v91
	v_add_f32_e32 v102, v75, v79
	v_fmamk_f32 v101, v220, 0xbf737871, v210
	v_fma_f32 v213, -0.5, v100, v75
	v_add_f32_e32 v102, v102, v83
	v_fmac_f32_e32 v210, 0x3f737871, v220
	v_fmac_f32_e32 v101, 0xbf167918, v217
	v_fmamk_f32 v100, v219, 0x3f737871, v213
	v_fmac_f32_e32 v213, 0xbf737871, v219
	v_fmac_f32_e32 v210, 0x3f167918, v217
	v_add_f32_e32 v102, v102, v91
	v_fmac_f32_e32 v101, 0x3e9e377a, v209
	v_fmac_f32_e32 v100, 0x3f167918, v216
	;; [unrolled: 1-line block ×4, first 2 shown]
	v_add_f32_e32 v230, v102, v87
	v_mul_f32_e32 v215, 0x3f167918, v101
	v_fmac_f32_e32 v100, 0x3e9e377a, v212
	v_fmac_f32_e32 v213, 0x3e9e377a, v212
	v_mul_f32_e32 v211, 0xbf167918, v100
	v_fmac_f32_e32 v215, 0x3f4f1bbd, v100
	v_add_f32_e32 v100, v128, v92
	v_fmac_f32_e32 v211, 0x3f4f1bbd, v101
	v_add_f32_e32 v101, v74, v78
	v_add_f32_e32 v100, v100, v96
	;; [unrolled: 1-line block ×4, first 2 shown]
	v_sub_f32_e32 v82, v82, v78
	v_add_f32_e32 v78, v78, v86
	v_add_f32_e32 v100, v100, v108
	;; [unrolled: 1-line block ×3, first 2 shown]
	v_sub_f32_e32 v90, v90, v86
	v_fma_f32 v74, -0.5, v78, v74
	v_add_f32_e32 v223, v100, v104
	v_add_f32_e32 v100, v96, v108
	v_sub_f32_e32 v96, v96, v92
	v_add_f32_e32 v92, v92, v104
	v_fmamk_f32 v78, v217, 0x3f737871, v74
	v_fmac_f32_e32 v74, 0xbf737871, v217
	v_add_f32_e32 v82, v82, v90
	v_sub_f32_e32 v108, v108, v104
	v_fma_f32 v104, -0.5, v92, v128
	v_fmac_f32_e32 v78, 0xbf167918, v220
	v_fmac_f32_e32 v74, 0x3f167918, v220
	v_fma_f32 v214, -0.5, v100, v128
	v_add_f32_e32 v96, v96, v108
	v_fmamk_f32 v108, v224, 0x3f737871, v104
	v_fmac_f32_e32 v78, 0x3e9e377a, v82
	v_fmac_f32_e32 v74, 0x3e9e377a, v82
	v_sub_f32_e32 v82, v83, v79
	v_add_f32_e32 v79, v79, v87
	v_fmac_f32_e32 v104, 0xbf737871, v224
	v_fmac_f32_e32 v108, 0xbf167918, v225
	v_sub_f32_e32 v83, v91, v87
	v_add_f32_e32 v100, v129, v93
	v_fma_f32 v75, -0.5, v79, v75
	v_fmac_f32_e32 v104, 0x3f167918, v225
	v_fmac_f32_e32 v108, 0x3e9e377a, v96
	v_sub_f32_e32 v92, v97, v93
	v_add_f32_e32 v93, v93, v105
	v_fmamk_f32 v79, v216, 0xbf737871, v75
	v_fmac_f32_e32 v104, 0x3e9e377a, v96
	v_sub_f32_e32 v96, v109, v105
	v_add_f32_e32 v82, v82, v83
	v_fmac_f32_e32 v75, 0x3f737871, v216
	v_fmac_f32_e32 v79, 0x3f167918, v219
	v_add_f32_e32 v100, v100, v97
	v_add_f32_e32 v92, v92, v96
	v_fma_f32 v96, -0.5, v93, v129
	v_fmac_f32_e32 v75, 0xbf167918, v219
	v_fmac_f32_e32 v79, 0x3e9e377a, v82
	v_fmamk_f32 v221, v225, 0xbf737871, v214
	v_fmac_f32_e32 v214, 0x3f737871, v225
	v_fmamk_f32 v97, v226, 0xbf737871, v96
	v_fmac_f32_e32 v96, 0x3f737871, v226
	v_fmac_f32_e32 v75, 0x3e9e377a, v82
	v_mul_f32_e32 v82, 0xbf737871, v79
	v_mul_f32_e32 v79, 0x3e9e377a, v79
	v_fmac_f32_e32 v97, 0x3f167918, v227
	v_fmac_f32_e32 v96, 0xbf167918, v227
	v_add_f32_e32 v100, v100, v109
	v_fmac_f32_e32 v82, 0x3e9e377a, v78
	v_fmac_f32_e32 v79, 0x3f737871, v78
	v_mul_f32_e32 v78, 0xbf737871, v75
	v_mul_f32_e32 v75, 0xbe9e377a, v75
	v_fmac_f32_e32 v97, 0x3e9e377a, v92
	v_fmac_f32_e32 v96, 0x3e9e377a, v92
	;; [unrolled: 1-line block ×5, first 2 shown]
	v_mul_f32_e32 v74, 0xbf167918, v213
	v_mul_f32_e32 v83, 0xbf4f1bbd, v213
	v_fmac_f32_e32 v221, 0xbf167918, v224
	v_add_f32_e32 v229, v101, v86
	v_add_f32_e32 v228, v100, v105
	;; [unrolled: 1-line block ×6, first 2 shown]
	v_fmac_f32_e32 v214, 0x3e9e377a, v207
	v_fmac_f32_e32 v74, 0xbf4f1bbd, v210
	;; [unrolled: 1-line block ×4, first 2 shown]
	ds_read2_b64 v[100:103], v200 offset0:20 offset1:25
	ds_read2_b64 v[120:123], v200 offset0:50 offset1:55
	;; [unrolled: 1-line block ×5, first 2 shown]
	s_waitcnt lgkmcnt(0)
	s_barrier
	buffer_gl0_inv
	ds_write_b128 v204, v[90:93] offset:16
	v_sub_f32_e32 v92, v223, v229
	v_sub_f32_e32 v93, v228, v230
	v_add_f32_e32 v90, v214, v74
	v_add_f32_e32 v91, v218, v83
	;; [unrolled: 1-line block ×3, first 2 shown]
	v_sub_f32_e32 v87, v98, v110
	v_add_f32_e32 v132, v223, v229
	v_add_f32_e32 v134, v221, v211
	ds_write_b128 v204, v[90:93] offset:32
	v_sub_f32_e32 v90, v221, v211
	v_sub_f32_e32 v92, v108, v82
	;; [unrolled: 1-line block ×8, first 2 shown]
	ds_write_b128 v204, v[90:93] offset:48
	v_sub_f32_e32 v90, v104, v78
	v_sub_f32_e32 v92, v214, v74
	;; [unrolled: 1-line block ×4, first 2 shown]
	v_add_f32_e32 v74, v130, v94
	v_add_f32_e32 v75, v131, v95
	;; [unrolled: 1-line block ×3, first 2 shown]
	v_sub_f32_e32 v83, v98, v94
	ds_write_b128 v204, v[90:93] offset:64
	v_add_f32_e32 v74, v74, v98
	v_sub_f32_e32 v90, v95, v99
	v_sub_f32_e32 v91, v106, v110
	v_sub_f32_e32 v92, v107, v111
	v_add_f32_e32 v75, v75, v99
	v_add_f32_e32 v74, v74, v110
	v_sub_f32_e32 v96, v99, v95
	v_add_f32_e32 v82, v82, v91
	v_add_f32_e32 v105, v90, v92
	v_sub_f32_e32 v90, v120, v124
	v_sub_f32_e32 v91, v112, v116
	v_add_f32_e32 v98, v94, v106
	v_sub_f32_e32 v94, v94, v106
	v_add_f32_e32 v75, v75, v111
	;; [unrolled: 2-line block ×3, first 2 shown]
	v_add_f32_e32 v106, v90, v91
	v_sub_f32_e32 v90, v121, v125
	v_sub_f32_e32 v91, v113, v117
	v_add_f32_e32 v95, v95, v107
	v_sub_f32_e32 v104, v111, v107
	v_add_f32_e32 v75, v75, v107
	;; [unrolled: 2-line block ×3, first 2 shown]
	v_add_f32_e32 v90, v124, v116
	v_sub_f32_e32 v111, v124, v116
	v_sub_f32_e32 v129, v125, v117
	v_add_f32_e32 v133, v228, v230
	v_fma_f32 v78, -0.5, v78, v130
	v_fma_f32 v108, -0.5, v90, v100
	v_add_f32_e32 v90, v125, v117
	v_fma_f32 v86, -0.5, v86, v131
	ds_write_b128 v204, v[132:135]
	v_fmac_f32_e32 v131, -0.5, v95
	v_fmamk_f32 v91, v128, 0xbf737871, v108
	v_fma_f32 v109, -0.5, v90, v101
	v_fma_f32 v95, -0.5, v98, v130
	v_fmamk_f32 v134, v97, 0xbf737871, v78
	v_fmamk_f32 v135, v94, 0x3f737871, v86
	v_fmac_f32_e32 v91, 0xbf167918, v129
	v_fmamk_f32 v90, v110, 0x3f737871, v109
	v_fmamk_f32 v98, v79, 0x3f737871, v95
	v_fmac_f32_e32 v95, 0xbf737871, v79
	v_fmac_f32_e32 v134, 0xbf167918, v79
	v_fmac_f32_e32 v91, 0x3e9e377a, v106
	v_fmac_f32_e32 v90, 0x3f167918, v111
	v_fmac_f32_e32 v135, 0x3f167918, v87
	v_add_f32_e32 v83, v83, v99
	v_fmac_f32_e32 v98, 0xbf167918, v97
	v_mul_f32_e32 v133, 0x3f167918, v91
	v_fmac_f32_e32 v90, 0x3e9e377a, v107
	v_fmac_f32_e32 v95, 0x3f167918, v97
	;; [unrolled: 1-line block ×5, first 2 shown]
	v_mul_f32_e32 v132, 0xbf167918, v90
	v_fmac_f32_e32 v133, 0x3f4f1bbd, v90
	v_add_f32_e32 v90, v100, v120
	v_fmac_f32_e32 v95, 0x3e9e377a, v83
	v_add_f32_e32 v83, v96, v104
	;; [unrolled: 2-line block ×3, first 2 shown]
	v_add_f32_e32 v90, v90, v124
	v_fmamk_f32 v96, v87, 0xbf737871, v131
	v_fmac_f32_e32 v131, 0x3f737871, v87
	v_add_f32_e32 v92, v134, v132
	v_add_f32_e32 v91, v91, v125
	;; [unrolled: 1-line block ×4, first 2 shown]
	v_fmac_f32_e32 v96, 0x3f167918, v94
	v_fmac_f32_e32 v131, 0xbf167918, v94
	v_add_f32_e32 v91, v91, v117
	v_add_f32_e32 v204, v90, v112
	v_fmac_f32_e32 v109, 0xbf737871, v110
	v_fmac_f32_e32 v96, 0x3e9e377a, v83
	;; [unrolled: 1-line block ×3, first 2 shown]
	v_add_f32_e32 v207, v91, v113
	v_add_f32_e32 v90, v74, v204
	v_sub_f32_e32 v83, v124, v120
	v_fmac_f32_e32 v108, 0x3f737871, v128
	v_fmac_f32_e32 v109, 0xbf167918, v111
	v_add_f32_e32 v91, v75, v207
	v_fmac_f32_e32 v78, 0x3f737871, v97
	v_fmac_f32_e32 v86, 0xbf737871, v94
	;; [unrolled: 1-line block ×4, first 2 shown]
	ds_write_b128 v203, v[90:93]
	v_sub_f32_e32 v90, v116, v112
	v_sub_f32_e32 v92, v117, v113
	v_fmac_f32_e32 v78, 0x3f167918, v79
	v_fmac_f32_e32 v86, 0xbf167918, v87
	;; [unrolled: 1-line block ×3, first 2 shown]
	v_add_f32_e32 v83, v83, v90
	v_add_f32_e32 v90, v120, v112
	v_fmac_f32_e32 v78, 0x3e9e377a, v82
	v_fmac_f32_e32 v86, 0x3e9e377a, v105
	v_sub_f32_e32 v79, v81, v89
	v_sub_f32_e32 v82, v76, v80
	v_fma_f32 v90, -0.5, v90, v100
	v_sub_f32_e32 v87, v77, v81
	v_add_f32_e32 v94, v126, v118
	v_sub_f32_e32 v104, v123, v115
	v_sub_f32_e32 v106, v122, v114
	v_fmamk_f32 v91, v129, 0x3f737871, v90
	v_fmac_f32_e32 v90, 0xbf737871, v129
	v_fma_f32 v94, -0.5, v94, v102
	v_add_f32_e32 v105, v122, v114
	v_add_f32_e32 v107, v123, v115
	v_fmac_f32_e32 v91, 0xbf167918, v128
	v_fmac_f32_e32 v90, 0x3f167918, v128
	v_sub_f32_e32 v97, v126, v122
	v_fmac_f32_e32 v91, 0x3e9e377a, v83
	v_fmac_f32_e32 v90, 0x3e9e377a, v83
	v_sub_f32_e32 v83, v125, v121
	v_add_f32_e32 v83, v83, v92
	v_add_f32_e32 v92, v121, v113
	v_fma_f32 v92, -0.5, v92, v101
	v_fmamk_f32 v93, v111, 0xbf737871, v92
	v_fmac_f32_e32 v92, 0x3f737871, v111
	v_sub_f32_e32 v111, v119, v115
	v_fmac_f32_e32 v93, 0x3f167918, v110
	v_fmac_f32_e32 v92, 0xbf167918, v110
	v_sub_f32_e32 v110, v115, v119
	v_fmac_f32_e32 v93, 0x3e9e377a, v83
	v_fmac_f32_e32 v92, 0x3e9e377a, v83
	v_mul_f32_e32 v83, 0xbf737871, v93
	v_mul_f32_e32 v99, 0x3e9e377a, v93
	;; [unrolled: 1-line block ×4, first 2 shown]
	v_fmac_f32_e32 v83, 0x3e9e377a, v91
	v_fmac_f32_e32 v99, 0x3f737871, v91
	;; [unrolled: 1-line block ×4, first 2 shown]
	v_add_f32_e32 v90, v98, v83
	v_add_f32_e32 v91, v96, v99
	;; [unrolled: 1-line block ×4, first 2 shown]
	ds_write_b128 v203, v[90:93] offset:16
	v_sub_f32_e32 v92, v74, v204
	v_sub_f32_e32 v93, v75, v207
	v_mul_f32_e32 v74, 0xbf167918, v109
	v_mul_f32_e32 v75, 0xbf4f1bbd, v109
	v_sub_f32_e32 v109, v118, v114
	v_fmac_f32_e32 v74, 0xbf4f1bbd, v108
	v_fmac_f32_e32 v75, 0x3f167918, v108
	v_sub_f32_e32 v108, v114, v118
	v_add_f32_e32 v90, v78, v74
	v_add_f32_e32 v91, v86, v75
	ds_write_b128 v203, v[90:93] offset:32
	v_sub_f32_e32 v90, v134, v132
	v_sub_f32_e32 v92, v98, v83
	v_sub_f32_e32 v91, v135, v133
	v_sub_f32_e32 v93, v96, v99
	v_sub_f32_e32 v83, v80, v76
	v_add_f32_e32 v98, v127, v119
	v_sub_f32_e32 v96, v122, v126
	v_sub_f32_e32 v99, v126, v118
	ds_write_b128 v203, v[90:93] offset:48
	v_sub_f32_e32 v92, v78, v74
	v_sub_f32_e32 v93, v86, v75
	v_add_f32_e32 v74, v72, v76
	v_add_f32_e32 v75, v73, v77
	v_sub_f32_e32 v91, v131, v101
	v_sub_f32_e32 v90, v95, v100
	v_add_f32_e32 v78, v80, v88
	v_add_f32_e32 v74, v74, v80
	v_add_f32_e32 v75, v75, v81
	v_add_f32_e32 v86, v81, v89
	ds_write_b128 v203, v[90:93] offset:64
	v_sub_f32_e32 v80, v80, v88
	v_add_f32_e32 v74, v74, v88
	v_add_f32_e32 v75, v75, v89
	v_sub_f32_e32 v81, v81, v77
	v_sub_f32_e32 v90, v77, v85
	v_add_f32_e32 v91, v76, v84
	v_sub_f32_e32 v92, v76, v84
	v_add_f32_e32 v93, v77, v85
	v_sub_f32_e32 v76, v84, v88
	v_sub_f32_e32 v88, v88, v84
	;; [unrolled: 1-line block ×4, first 2 shown]
	v_add_f32_e32 v84, v74, v84
	v_add_f32_e32 v85, v75, v85
	;; [unrolled: 1-line block ×4, first 2 shown]
	v_fma_f32 v98, -0.5, v98, v103
	v_sub_f32_e32 v95, v127, v119
	v_sub_f32_e32 v100, v123, v127
	v_add_f32_e32 v74, v74, v126
	v_add_f32_e32 v75, v75, v127
	;; [unrolled: 1-line block ×3, first 2 shown]
	v_fma_f32 v78, -0.5, v78, v72
	v_add_f32_e32 v100, v100, v110
	v_add_f32_e32 v74, v74, v118
	;; [unrolled: 1-line block ×3, first 2 shown]
	v_fma_f32 v86, -0.5, v86, v73
	v_add_f32_e32 v82, v82, v76
	v_add_f32_e32 v87, v87, v77
	;; [unrolled: 1-line block ×4, first 2 shown]
	v_fmamk_f32 v74, v106, 0x3f737871, v98
	v_fmamk_f32 v75, v104, 0xbf737871, v94
	v_fmamk_f32 v114, v90, 0xbf737871, v78
	v_fmamk_f32 v115, v92, 0x3f737871, v86
	v_fma_f32 v72, -0.5, v91, v72
	v_fmac_f32_e32 v74, 0x3f167918, v99
	v_fmac_f32_e32 v75, 0xbf167918, v95
	;; [unrolled: 1-line block ×4, first 2 shown]
	v_fmac_f32_e32 v103, -0.5, v107
	v_fmac_f32_e32 v74, 0x3e9e377a, v100
	v_fmac_f32_e32 v75, 0x3e9e377a, v96
	;; [unrolled: 1-line block ×4, first 2 shown]
	v_sub_f32_e32 v101, v127, v123
	v_mul_f32_e32 v108, 0xbf167918, v74
	v_mul_f32_e32 v110, 0x3f167918, v75
	v_fmac_f32_e32 v73, -0.5, v93
	v_fmac_f32_e32 v98, 0xbf737871, v106
	v_fmac_f32_e32 v94, 0x3f737871, v104
	;; [unrolled: 1-line block ×4, first 2 shown]
	v_add_f32_e32 v74, v84, v112
	v_add_f32_e32 v75, v85, v113
	v_fmac_f32_e32 v98, 0xbf167918, v99
	v_add_f32_e32 v76, v114, v108
	v_add_f32_e32 v77, v115, v110
	v_fmac_f32_e32 v78, 0x3f737871, v90
	v_fmac_f32_e32 v86, 0xbf737871, v92
	;; [unrolled: 1-line block ×4, first 2 shown]
	ds_write_b128 v202, v[74:77]
	v_add_f32_e32 v77, v83, v88
	v_fmamk_f32 v83, v79, 0x3f737871, v72
	v_fmac_f32_e32 v72, 0xbf737871, v79
	v_fmamk_f32 v75, v99, 0xbf737871, v103
	v_fmac_f32_e32 v103, 0x3f737871, v99
	v_add_f32_e32 v74, v101, v111
	v_fmac_f32_e32 v83, 0xbf167918, v90
	v_fmac_f32_e32 v72, 0x3f167918, v90
	v_fma_f32 v76, -0.5, v105, v102
	v_fmac_f32_e32 v103, 0xbf167918, v106
	v_fmac_f32_e32 v75, 0x3f167918, v106
	;; [unrolled: 1-line block ×4, first 2 shown]
	v_add_f32_e32 v77, v81, v89
	v_fmamk_f32 v81, v80, 0xbf737871, v73
	v_fmac_f32_e32 v73, 0x3f737871, v80
	v_fmac_f32_e32 v103, 0x3e9e377a, v74
	;; [unrolled: 1-line block ×3, first 2 shown]
	v_fmamk_f32 v74, v95, 0x3f737871, v76
	v_fmac_f32_e32 v81, 0x3f167918, v92
	v_fmac_f32_e32 v73, 0xbf167918, v92
	;; [unrolled: 1-line block ×3, first 2 shown]
	v_mul_f32_e32 v101, 0xbf737871, v103
	v_fmac_f32_e32 v74, 0xbf167918, v104
	v_fmac_f32_e32 v81, 0x3e9e377a, v77
	;; [unrolled: 1-line block ×3, first 2 shown]
	v_add_f32_e32 v77, v97, v109
	v_fmac_f32_e32 v76, 0x3f167918, v104
	v_mul_f32_e32 v102, 0xbe9e377a, v103
	v_mul_f32_e32 v88, 0xbf737871, v75
	;; [unrolled: 1-line block ×3, first 2 shown]
	v_fmac_f32_e32 v74, 0x3e9e377a, v77
	v_fmac_f32_e32 v76, 0x3e9e377a, v77
	v_fmac_f32_e32 v78, 0x3f167918, v79
	v_fmac_f32_e32 v86, 0xbf167918, v80
	v_fmac_f32_e32 v94, 0x3e9e377a, v96
	v_fmac_f32_e32 v88, 0x3e9e377a, v74
	v_fmac_f32_e32 v89, 0x3f737871, v74
	v_fmac_f32_e32 v101, 0xbe9e377a, v76
	v_fmac_f32_e32 v102, 0x3f737871, v76
	v_mul_f32_e32 v79, 0xbf167918, v98
	v_mul_f32_e32 v80, 0xbf4f1bbd, v98
	v_add_f32_e32 v74, v83, v88
	v_add_f32_e32 v76, v72, v101
	;; [unrolled: 1-line block ×4, first 2 shown]
	v_fmac_f32_e32 v78, 0x3e9e377a, v82
	v_fmac_f32_e32 v86, 0x3e9e377a, v87
	v_fmac_f32_e32 v79, 0xbf4f1bbd, v94
	v_fmac_f32_e32 v80, 0x3f167918, v94
	ds_write_b128 v202, v[74:77] offset:16
	v_sub_f32_e32 v76, v84, v112
	v_sub_f32_e32 v77, v85, v113
	v_add_f32_e32 v74, v78, v79
	v_add_f32_e32 v75, v86, v80
	v_sub_f32_e32 v73, v73, v102
	v_sub_f32_e32 v72, v72, v101
	ds_write_b128 v202, v[74:77] offset:32
	v_sub_f32_e32 v74, v114, v108
	v_sub_f32_e32 v76, v83, v88
	;; [unrolled: 1-line block ×4, first 2 shown]
	ds_write_b128 v202, v[74:77] offset:48
	v_sub_f32_e32 v74, v78, v79
	v_sub_f32_e32 v75, v86, v80
	ds_write_b128 v202, v[72:75] offset:64
	s_waitcnt lgkmcnt(0)
	s_barrier
	buffer_gl0_inv
	ds_read2_b64 v[72:75], v200 offset0:30 offset1:35
	ds_read2_b64 v[82:85], v200 offset0:70 offset1:75
	s_waitcnt lgkmcnt(1)
	v_mul_f32_e32 v88, v9, v73
	v_mul_f32_e32 v94, v13, v75
	s_waitcnt lgkmcnt(0)
	v_mul_f32_e32 v79, v11, v83
	v_mul_f32_e32 v86, v15, v85
	v_fmac_f32_e32 v88, v8, v72
	v_mul_f32_e32 v72, v9, v72
	v_fmac_f32_e32 v94, v12, v74
	v_fmac_f32_e32 v79, v10, v82
	;; [unrolled: 1-line block ×3, first 2 shown]
	v_fma_f32 v89, v8, v73, -v72
	v_mul_f32_e32 v72, v13, v74
	v_fma_f32 v96, v12, v75, -v72
	ds_read2_b64 v[72:75], v200 offset0:60 offset1:65
	s_waitcnt lgkmcnt(0)
	v_mul_f32_e32 v99, v11, v73
	v_mul_f32_e32 v100, v15, v75
	v_fmac_f32_e32 v99, v10, v72
	v_mul_f32_e32 v72, v11, v72
	v_fmac_f32_e32 v100, v14, v74
	v_fma_f32 v101, v10, v73, -v72
	v_mul_f32_e32 v72, v15, v74
	v_fma_f32 v102, v14, v75, -v72
	ds_read2_b64 v[72:75], v200 offset0:40 offset1:45
	s_waitcnt lgkmcnt(0)
	v_mul_f32_e32 v76, v9, v73
	v_mul_f32_e32 v9, v9, v72
	v_fmac_f32_e32 v76, v8, v72
	v_fma_f32 v78, v8, v73, -v9
	v_mul_f32_e32 v8, v11, v82
	v_mul_f32_e32 v82, v13, v75
	v_fma_f32 v80, v10, v83, -v8
	v_mul_f32_e32 v8, v13, v74
	v_fmac_f32_e32 v82, v12, v74
	v_fma_f32 v83, v12, v75, -v8
	v_mul_f32_e32 v8, v15, v84
	v_fma_f32 v87, v14, v85, -v8
	ds_read2_b64 v[8:11], v200 offset0:90 offset1:95
	ds_read2_b64 v[12:15], v200 offset0:130 offset1:135
	s_waitcnt lgkmcnt(1)
	v_mul_f32_e32 v104, v5, v9
	v_mul_f32_e32 v105, v1, v11
	s_waitcnt lgkmcnt(0)
	v_mul_f32_e32 v98, v3, v15
	v_mul_f32_e32 v92, v7, v13
	v_fmac_f32_e32 v104, v4, v8
	v_mul_f32_e32 v8, v5, v8
	v_fmac_f32_e32 v105, v0, v10
	v_fmac_f32_e32 v98, v2, v14
	v_fmac_f32_e32 v92, v6, v12
	v_sub_f32_e32 v113, v99, v104
	v_fma_f32 v106, v4, v9, -v8
	v_mul_f32_e32 v8, v1, v10
	v_sub_f32_e32 v118, v100, v105
	v_sub_f32_e32 v112, v101, v106
	v_fma_f32 v107, v0, v11, -v8
	ds_read2_b64 v[8:11], v200 offset0:120 offset1:125
	v_sub_f32_e32 v116, v102, v107
	s_waitcnt lgkmcnt(0)
	v_mul_f32_e32 v108, v7, v9
	v_mul_f32_e32 v109, v3, v11
	v_fmac_f32_e32 v108, v6, v8
	v_mul_f32_e32 v8, v7, v8
	v_fmac_f32_e32 v109, v2, v10
	v_sub_f32_e32 v117, v88, v108
	v_fma_f32 v110, v6, v9, -v8
	v_mul_f32_e32 v8, v3, v10
	v_sub_f32_e32 v120, v94, v109
	v_sub_f32_e32 v115, v89, v110
	v_fma_f32 v111, v2, v11, -v8
	ds_read2_b64 v[8:11], v200 offset0:100 offset1:105
	v_sub_f32_e32 v119, v96, v111
	s_waitcnt lgkmcnt(0)
	v_mul_f32_e32 v95, v1, v11
	v_mul_f32_e32 v1, v1, v10
	;; [unrolled: 1-line block ×4, first 2 shown]
	v_fmac_f32_e32 v95, v0, v10
	v_fma_f32 v97, v0, v11, -v1
	v_mul_f32_e32 v0, v3, v14
	v_fmac_f32_e32 v90, v4, v8
	v_fma_f32 v91, v4, v9, -v5
	v_mul_f32_e32 v4, v7, v12
	v_fma_f32 v103, v2, v15, -v0
	ds_read2_b64 v[0:3], v200 offset0:50 offset1:55
	v_fma_f32 v93, v6, v13, -v4
	ds_read2_b64 v[4:7], v200 offset0:80 offset1:85
	s_waitcnt lgkmcnt(1)
	v_mul_f32_e32 v73, v17, v1
	v_mul_f32_e32 v77, v29, v3
	s_waitcnt lgkmcnt(0)
	v_mul_f32_e32 v75, v19, v5
	v_mul_f32_e32 v81, v31, v7
	v_fmac_f32_e32 v73, v16, v0
	v_mul_f32_e32 v0, v17, v0
	v_fmac_f32_e32 v77, v28, v2
	v_fmac_f32_e32 v75, v18, v4
	;; [unrolled: 1-line block ×3, first 2 shown]
	v_fma_f32 v72, v16, v1, -v0
	v_mul_f32_e32 v0, v19, v4
	v_fma_f32 v74, v18, v5, -v0
	v_mul_f32_e32 v0, v29, v2
	;; [unrolled: 2-line block ×3, first 2 shown]
	v_fma_f32 v29, v30, v7, -v0
	ds_read2_b64 v[0:3], v200 offset0:110 offset1:115
	ds_read2_b64 v[4:7], v200 offset0:140 offset1:145
	s_waitcnt lgkmcnt(1)
	v_mul_f32_e32 v31, v21, v1
	s_waitcnt lgkmcnt(0)
	v_mul_f32_e32 v84, v23, v5
	v_fmac_f32_e32 v31, v20, v0
	v_mul_f32_e32 v0, v21, v0
	v_fmac_f32_e32 v84, v22, v4
	v_mul_f32_e32 v21, v25, v3
	v_fma_f32 v30, v20, v1, -v0
	v_mul_f32_e32 v0, v23, v4
	v_sub_f32_e32 v1, v104, v108
	v_fmac_f32_e32 v21, v24, v2
	v_fma_f32 v85, v22, v5, -v0
	v_mul_f32_e32 v0, v25, v2
	v_mul_f32_e32 v22, v27, v7
	v_fma_f32 v20, v24, v3, -v0
	v_mul_f32_e32 v0, v27, v6
	v_fmac_f32_e32 v22, v26, v6
	v_fma_f32 v23, v26, v7, -v0
	ds_read2_b64 v[4:7], v200 offset1:5
	v_sub_f32_e32 v0, v99, v88
	v_add_f32_e32 v24, v0, v1
	v_add_f32_e32 v0, v88, v108
	;; [unrolled: 1-line block ×3, first 2 shown]
	s_waitcnt lgkmcnt(0)
	v_fma_f32 v12, -0.5, v0, v4
	v_fma_f32 v13, -0.5, v1, v5
	v_sub_f32_e32 v0, v101, v89
	v_sub_f32_e32 v1, v106, v110
	v_add_f32_e32 v27, v6, v94
	v_add_f32_e32 v121, v7, v96
	v_fmamk_f32 v16, v112, 0x3f737871, v12
	v_fmac_f32_e32 v12, 0xbf737871, v112
	v_add_f32_e32 v25, v0, v1
	v_add_f32_e32 v0, v100, v105
	;; [unrolled: 1-line block ×3, first 2 shown]
	v_fmamk_f32 v17, v113, 0xbf737871, v13
	v_fmac_f32_e32 v13, 0x3f737871, v113
	v_fmac_f32_e32 v12, 0x3f167918, v115
	v_fma_f32 v14, -0.5, v0, v6
	v_fma_f32 v6, -0.5, v1, v6
	v_sub_f32_e32 v0, v100, v94
	v_sub_f32_e32 v1, v105, v109
	v_fmac_f32_e32 v13, 0xbf167918, v117
	v_fmac_f32_e32 v12, 0x3e9e377a, v24
	v_fmamk_f32 v18, v116, 0x3f737871, v6
	v_fmac_f32_e32 v6, 0xbf737871, v116
	v_add_f32_e32 v26, v0, v1
	v_add_f32_e32 v0, v102, v107
	v_sub_f32_e32 v1, v107, v111
	v_fmac_f32_e32 v13, 0x3e9e377a, v25
	v_fmac_f32_e32 v6, 0x3f167918, v119
	;; [unrolled: 1-line block ×3, first 2 shown]
	v_fma_f32 v15, -0.5, v0, v7
	v_add_f32_e32 v0, v96, v111
	v_fmac_f32_e32 v17, 0x3f167918, v117
	v_fmac_f32_e32 v6, 0x3e9e377a, v26
	;; [unrolled: 1-line block ×4, first 2 shown]
	v_fmac_f32_e32 v7, -0.5, v0
	v_sub_f32_e32 v0, v102, v96
	v_fmac_f32_e32 v17, 0x3e9e377a, v25
	v_fmac_f32_e32 v18, 0x3e9e377a, v26
	v_sub_f32_e32 v26, v80, v91
	v_fmamk_f32 v19, v118, 0xbf737871, v7
	v_fmac_f32_e32 v7, 0x3f737871, v118
	v_add_f32_e32 v114, v0, v1
	ds_read2_b64 v[8:11], v200 offset0:10 offset1:15
	ds_read2_b64 v[0:3], v200 offset0:20 offset1:25
	s_waitcnt lgkmcnt(0)
	s_barrier
	v_fmac_f32_e32 v7, 0xbf167918, v120
	buffer_gl0_inv
	v_fmac_f32_e32 v19, 0x3f167918, v120
	v_fmac_f32_e32 v7, 0x3e9e377a, v114
	;; [unrolled: 1-line block ×3, first 2 shown]
	ds_write2_b64 v200, v[12:13], v[6:7] offset0:30 offset1:35
	v_add_f32_e32 v6, v99, v104
	v_add_f32_e32 v7, v101, v106
	;; [unrolled: 1-line block ×4, first 2 shown]
	v_sub_f32_e32 v27, v94, v100
	v_fma_f32 v6, -0.5, v6, v4
	v_fma_f32 v7, -0.5, v7, v5
	v_add_f32_e32 v4, v4, v88
	v_add_f32_e32 v5, v5, v89
	;; [unrolled: 1-line block ×4, first 2 shown]
	v_sub_f32_e32 v94, v111, v107
	v_add_f32_e32 v4, v4, v99
	v_add_f32_e32 v5, v5, v101
	;; [unrolled: 1-line block ×4, first 2 shown]
	ds_write2_b64 v200, v[16:17], v[18:19] offset0:20 offset1:25
	v_add_f32_e32 v4, v4, v104
	v_add_f32_e32 v5, v5, v106
	;; [unrolled: 1-line block ×4, first 2 shown]
	v_sub_f32_e32 v100, v82, v98
	v_add_f32_e32 v4, v4, v108
	v_add_f32_e32 v5, v5, v110
	ds_write2_b64 v200, v[4:5], v[12:13] offset1:5
	v_sub_f32_e32 v4, v88, v99
	v_sub_f32_e32 v5, v108, v104
	;; [unrolled: 1-line block ×6, first 2 shown]
	v_add_f32_e32 v96, v4, v5
	v_fmamk_f32 v4, v115, 0xbf737871, v6
	v_add_f32_e32 v99, v12, v13
	v_fmamk_f32 v5, v117, 0x3f737871, v7
	v_fmamk_f32 v12, v119, 0xbf737871, v14
	;; [unrolled: 1-line block ×3, first 2 shown]
	v_fmac_f32_e32 v6, 0x3f737871, v115
	v_fmac_f32_e32 v7, 0xbf737871, v117
	;; [unrolled: 1-line block ×4, first 2 shown]
	v_add_f32_e32 v27, v27, v88
	v_add_f32_e32 v88, v89, v94
	v_fmac_f32_e32 v6, 0x3f167918, v112
	v_fmac_f32_e32 v7, 0xbf167918, v113
	v_fmac_f32_e32 v14, 0x3f167918, v116
	v_fmac_f32_e32 v15, 0xbf167918, v118
	v_fmac_f32_e32 v4, 0xbf167918, v112
	v_fmac_f32_e32 v6, 0x3e9e377a, v96
	v_fmac_f32_e32 v7, 0x3e9e377a, v99
	v_fmac_f32_e32 v14, 0x3e9e377a, v27
	v_fmac_f32_e32 v15, 0x3e9e377a, v88
	v_fmac_f32_e32 v5, 0x3f167918, v113
	v_fmac_f32_e32 v12, 0xbf167918, v116
	v_fmac_f32_e32 v13, 0x3f167918, v118
	v_fmac_f32_e32 v4, 0x3e9e377a, v96
	ds_write2_b64 v200, v[6:7], v[14:15] offset0:40 offset1:45
	v_sub_f32_e32 v6, v80, v78
	v_sub_f32_e32 v7, v91, v93
	v_fmac_f32_e32 v5, 0x3e9e377a, v99
	v_fmac_f32_e32 v12, 0x3e9e377a, v27
	;; [unrolled: 1-line block ×3, first 2 shown]
	v_sub_f32_e32 v88, v79, v90
	v_add_f32_e32 v17, v6, v7
	v_add_f32_e32 v6, v86, v95
	;; [unrolled: 1-line block ×3, first 2 shown]
	ds_write2_b64 v200, v[4:5], v[12:13] offset0:10 offset1:15
	v_sub_f32_e32 v4, v79, v76
	v_sub_f32_e32 v5, v90, v92
	v_fma_f32 v6, -0.5, v6, v10
	v_fma_f32 v10, -0.5, v7, v10
	v_sub_f32_e32 v7, v86, v82
	v_sub_f32_e32 v12, v95, v98
	v_add_f32_e32 v16, v4, v5
	v_add_f32_e32 v4, v76, v92
	;; [unrolled: 1-line block ×3, first 2 shown]
	v_sub_f32_e32 v13, v97, v103
	v_add_f32_e32 v19, v7, v12
	v_add_f32_e32 v7, v87, v97
	;; [unrolled: 1-line block ×3, first 2 shown]
	v_fma_f32 v4, -0.5, v4, v8
	v_fma_f32 v5, -0.5, v5, v9
	v_sub_f32_e32 v94, v87, v97
	v_fma_f32 v7, -0.5, v7, v11
	v_fmac_f32_e32 v11, -0.5, v12
	v_sub_f32_e32 v12, v87, v83
	v_sub_f32_e32 v99, v86, v95
	;; [unrolled: 1-line block ×4, first 2 shown]
	v_fmamk_f32 v14, v94, 0x3f737871, v10
	v_add_f32_e32 v25, v12, v13
	v_fmamk_f32 v12, v26, 0x3f737871, v4
	v_fmac_f32_e32 v4, 0xbf737871, v26
	v_fmamk_f32 v13, v88, 0xbf737871, v5
	v_fmac_f32_e32 v5, 0x3f737871, v88
	v_fmac_f32_e32 v10, 0xbf737871, v94
	v_sub_f32_e32 v96, v83, v103
	v_fmamk_f32 v15, v99, 0xbf737871, v11
	v_fmac_f32_e32 v11, 0x3f737871, v99
	v_fmac_f32_e32 v4, 0x3f167918, v27
	;; [unrolled: 1-line block ×15, first 2 shown]
	ds_write2_b64 v200, v[4:5], v[10:11] offset0:80 offset1:85
	v_add_f32_e32 v4, v79, v90
	v_add_f32_e32 v5, v80, v91
	;; [unrolled: 1-line block ×4, first 2 shown]
	v_sub_f32_e32 v18, v82, v86
	v_fma_f32 v4, -0.5, v4, v8
	v_fma_f32 v5, -0.5, v5, v9
	v_add_f32_e32 v8, v8, v76
	v_add_f32_e32 v9, v9, v78
	;; [unrolled: 1-line block ×4, first 2 shown]
	v_sub_f32_e32 v24, v98, v95
	v_add_f32_e32 v8, v8, v79
	v_add_f32_e32 v9, v9, v80
	;; [unrolled: 1-line block ×7, first 2 shown]
	v_fmac_f32_e32 v14, 0x3e9e377a, v19
	v_fmac_f32_e32 v15, 0x3e9e377a, v25
	v_sub_f32_e32 v16, v20, v23
	v_add_f32_e32 v8, v8, v92
	v_add_f32_e32 v9, v9, v93
	v_sub_f32_e32 v17, v81, v21
	ds_write2_b64 v200, v[12:13], v[14:15] offset0:70 offset1:75
	v_sub_f32_e32 v12, v73, v84
	v_sub_f32_e32 v13, v29, v20
	ds_write2_b64 v200, v[8:9], v[10:11] offset0:50 offset1:55
	v_sub_f32_e32 v8, v76, v79
	v_sub_f32_e32 v9, v92, v90
	;; [unrolled: 1-line block ×6, first 2 shown]
	v_add_f32_e32 v79, v8, v9
	v_fmamk_f32 v8, v27, 0xbf737871, v4
	v_add_f32_e32 v80, v10, v11
	v_fmamk_f32 v9, v89, 0x3f737871, v5
	v_fmamk_f32 v10, v96, 0xbf737871, v6
	;; [unrolled: 1-line block ×3, first 2 shown]
	v_fmac_f32_e32 v4, 0x3f737871, v27
	v_fmac_f32_e32 v5, 0xbf737871, v89
	;; [unrolled: 1-line block ×4, first 2 shown]
	v_add_f32_e32 v24, v76, v78
	v_fmac_f32_e32 v4, 0x3f167918, v26
	v_fmac_f32_e32 v5, 0xbf167918, v88
	v_fmac_f32_e32 v6, 0x3f167918, v94
	v_fmac_f32_e32 v7, 0xbf167918, v99
	v_fmac_f32_e32 v8, 0xbf167918, v26
	v_fmac_f32_e32 v4, 0x3e9e377a, v79
	v_fmac_f32_e32 v5, 0x3e9e377a, v80
	v_fmac_f32_e32 v6, 0x3e9e377a, v18
	v_fmac_f32_e32 v7, 0x3e9e377a, v24
	v_fmac_f32_e32 v9, 0x3f167918, v88
	v_fmac_f32_e32 v10, 0xbf167918, v94
	v_fmac_f32_e32 v11, 0x3f167918, v99
	v_fmac_f32_e32 v8, 0x3e9e377a, v79
	ds_write2_b64 v200, v[4:5], v[6:7] offset0:90 offset1:95
	v_sub_f32_e32 v4, v75, v73
	v_sub_f32_e32 v5, v31, v84
	v_fmac_f32_e32 v9, 0x3e9e377a, v80
	v_fmac_f32_e32 v10, 0x3e9e377a, v18
	;; [unrolled: 1-line block ×3, first 2 shown]
	v_sub_f32_e32 v7, v74, v72
	v_add_f32_e32 v5, v4, v5
	v_add_f32_e32 v4, v73, v84
	v_sub_f32_e32 v14, v28, v23
	ds_write2_b64 v200, v[8:9], v[10:11] offset0:60 offset1:65
	v_sub_f32_e32 v8, v74, v30
	v_sub_f32_e32 v9, v72, v85
	v_fma_f32 v4, -0.5, v4, v0
	v_sub_f32_e32 v10, v30, v85
	v_sub_f32_e32 v11, v75, v31
	v_add_f32_e32 v15, v3, v28
	v_sub_f32_e32 v18, v77, v22
	v_fmamk_f32 v6, v8, 0x3f737871, v4
	v_fmac_f32_e32 v4, 0xbf737871, v8
	v_add_f32_e32 v10, v7, v10
	v_sub_f32_e32 v19, v85, v30
	v_fmac_f32_e32 v6, 0xbf167918, v9
	v_fmac_f32_e32 v4, 0x3f167918, v9
	;; [unrolled: 1-line block ×4, first 2 shown]
	v_add_f32_e32 v5, v72, v85
	v_fma_f32 v5, -0.5, v5, v1
	v_fmamk_f32 v7, v11, 0xbf737871, v5
	v_fmac_f32_e32 v5, 0x3f737871, v11
	v_fmac_f32_e32 v7, 0x3f167918, v12
	;; [unrolled: 1-line block ×5, first 2 shown]
	v_add_f32_e32 v10, v2, v77
	ds_write2_b64 v205, v[6:7], v[4:5] offset0:120 offset1:130
	v_add_f32_e32 v4, v81, v21
	v_add_f32_e32 v5, v77, v22
	v_sub_f32_e32 v6, v21, v22
	v_add_f32_e32 v7, v28, v23
	v_fma_f32 v4, -0.5, v4, v2
	v_fma_f32 v2, -0.5, v5, v2
	v_sub_f32_e32 v5, v81, v77
	v_add_f32_e32 v5, v5, v6
	v_fmamk_f32 v6, v13, 0x3f737871, v2
	v_fmac_f32_e32 v2, 0xbf737871, v13
	v_fmac_f32_e32 v6, 0xbf167918, v14
	;; [unrolled: 1-line block ×5, first 2 shown]
	v_add_f32_e32 v5, v29, v20
	v_fma_f32 v5, -0.5, v5, v3
	v_fmac_f32_e32 v3, -0.5, v7
	v_sub_f32_e32 v7, v29, v28
	v_add_f32_e32 v16, v7, v16
	v_fmamk_f32 v7, v17, 0xbf737871, v3
	v_fmac_f32_e32 v3, 0x3f737871, v17
	v_fmac_f32_e32 v7, 0x3f167918, v18
	;; [unrolled: 1-line block ×5, first 2 shown]
	v_sub_f32_e32 v16, v72, v74
	ds_write2_b64 v206, v[6:7], v[2:3] offset0:120 offset1:130
	v_add_f32_e32 v2, v75, v31
	v_add_f32_e32 v3, v74, v30
	v_sub_f32_e32 v6, v73, v75
	v_sub_f32_e32 v7, v84, v31
	v_add_f32_e32 v16, v16, v19
	v_fma_f32 v2, -0.5, v2, v0
	v_fma_f32 v3, -0.5, v3, v1
	v_add_f32_e32 v0, v0, v73
	v_add_f32_e32 v1, v1, v72
	;; [unrolled: 1-line block ×3, first 2 shown]
	v_fmamk_f32 v6, v9, 0xbf737871, v2
	v_fmamk_f32 v7, v12, 0x3f737871, v3
	v_add_f32_e32 v0, v0, v75
	v_add_f32_e32 v1, v1, v74
	v_fmac_f32_e32 v2, 0x3f737871, v9
	v_fmac_f32_e32 v6, 0xbf167918, v8
	;; [unrolled: 1-line block ×3, first 2 shown]
	v_add_f32_e32 v0, v0, v31
	v_add_f32_e32 v1, v1, v30
	v_fmac_f32_e32 v3, 0xbf737871, v12
	v_fmac_f32_e32 v6, 0x3e9e377a, v24
	;; [unrolled: 1-line block ×3, first 2 shown]
	v_add_f32_e32 v0, v0, v84
	v_add_f32_e32 v1, v1, v85
	v_fmac_f32_e32 v2, 0x3f167918, v8
	v_fmac_f32_e32 v3, 0xbf167918, v11
	ds_write2_b64 v205, v[0:1], v[6:7] offset0:100 offset1:110
	v_sub_f32_e32 v6, v77, v81
	v_sub_f32_e32 v7, v22, v21
	v_add_f32_e32 v0, v10, v81
	v_add_f32_e32 v1, v15, v29
	v_sub_f32_e32 v10, v28, v29
	v_sub_f32_e32 v15, v23, v20
	v_add_f32_e32 v19, v6, v7
	v_fmamk_f32 v6, v14, 0xbf737871, v4
	v_fmamk_f32 v7, v18, 0x3f737871, v5
	v_fmac_f32_e32 v4, 0x3f737871, v14
	v_fmac_f32_e32 v5, 0xbf737871, v18
	v_add_f32_e32 v0, v0, v21
	v_add_f32_e32 v1, v1, v20
	;; [unrolled: 1-line block ×3, first 2 shown]
	v_fmac_f32_e32 v6, 0xbf167918, v13
	v_fmac_f32_e32 v7, 0x3f167918, v17
	;; [unrolled: 1-line block ×4, first 2 shown]
	v_add_f32_e32 v0, v0, v22
	v_add_f32_e32 v1, v1, v23
	v_fmac_f32_e32 v6, 0x3e9e377a, v19
	v_fmac_f32_e32 v7, 0x3e9e377a, v10
	v_fmac_f32_e32 v2, 0x3e9e377a, v24
	v_fmac_f32_e32 v3, 0x3e9e377a, v16
	v_fmac_f32_e32 v4, 0x3e9e377a, v19
	v_fmac_f32_e32 v5, 0x3e9e377a, v10
	ds_write2_b64 v206, v[0:1], v[6:7] offset0:100 offset1:110
	ds_write_b64 v205, v[2:3] offset:1120
	ds_write_b64 v206, v[4:5] offset:1120
	s_waitcnt lgkmcnt(0)
	s_barrier
	buffer_gl0_inv
	ds_read2_b64 v[0:3], v200 offset0:50 offset1:55
	ds_read2_b64 v[4:7], v200 offset0:100 offset1:105
	s_waitcnt lgkmcnt(1)
	v_mul_f32_e32 v75, v37, v1
	s_waitcnt lgkmcnt(0)
	v_mul_f32_e32 v77, v39, v5
	v_mul_f32_e32 v73, v35, v7
	v_fmac_f32_e32 v75, v36, v0
	v_mul_f32_e32 v0, v37, v0
	v_fmac_f32_e32 v77, v38, v4
	v_fmac_f32_e32 v73, v34, v6
	v_fma_f32 v76, v36, v1, -v0
	v_mul_f32_e32 v0, v39, v4
	v_mul_f32_e32 v36, v33, v3
	v_fma_f32 v78, v38, v5, -v0
	v_mul_f32_e32 v0, v33, v2
	v_fmac_f32_e32 v36, v32, v2
	v_fma_f32 v72, v32, v3, -v0
	v_mul_f32_e32 v0, v35, v6
	v_fma_f32 v74, v34, v7, -v0
	ds_read2_b64 v[0:3], v200 offset0:60 offset1:65
	ds_read2_b64 v[4:7], v200 offset0:110 offset1:115
	s_waitcnt lgkmcnt(1)
	v_mul_f32_e32 v26, v45, v1
	v_mul_f32_e32 v30, v41, v3
	s_waitcnt lgkmcnt(0)
	v_mul_f32_e32 v33, v47, v5
	v_mul_f32_e32 v37, v43, v7
	v_fmac_f32_e32 v26, v44, v0
	v_mul_f32_e32 v0, v45, v0
	v_fmac_f32_e32 v30, v40, v2
	v_fmac_f32_e32 v33, v46, v4
	v_fmac_f32_e32 v37, v42, v6
	v_fma_f32 v31, v44, v1, -v0
	v_mul_f32_e32 v0, v47, v4
	v_fma_f32 v38, v46, v5, -v0
	v_mul_f32_e32 v0, v41, v2
	;; [unrolled: 2-line block ×3, first 2 shown]
	v_fma_f32 v40, v42, v7, -v0
	ds_read2_b64 v[0:3], v200 offset0:70 offset1:75
	ds_read2_b64 v[4:7], v200 offset0:120 offset1:125
	ds_read2_b64 v[41:44], v200 offset1:5
	s_waitcnt lgkmcnt(2)
	v_mul_f32_e32 v8, v57, v1
	v_mul_f32_e32 v32, v49, v3
	s_waitcnt lgkmcnt(1)
	v_mul_f32_e32 v10, v59, v5
	v_mul_f32_e32 v12, v51, v7
	v_fmac_f32_e32 v8, v56, v0
	v_mul_f32_e32 v0, v57, v0
	v_fmac_f32_e32 v32, v48, v2
	v_fmac_f32_e32 v10, v58, v4
	;; [unrolled: 1-line block ×3, first 2 shown]
	v_sub_f32_e32 v57, v76, v78
	v_fma_f32 v9, v56, v1, -v0
	v_mul_f32_e32 v0, v59, v4
	v_fma_f32 v11, v58, v5, -v0
	v_mul_f32_e32 v0, v49, v2
	v_sub_f32_e32 v58, v75, v77
	v_fma_f32 v39, v48, v3, -v0
	v_mul_f32_e32 v0, v51, v6
	v_fma_f32 v15, v50, v7, -v0
	ds_read2_b64 v[0:3], v200 offset0:80 offset1:85
	ds_read2_b64 v[4:7], v200 offset0:130 offset1:135
	s_waitcnt lgkmcnt(1)
	v_mul_f32_e32 v17, v61, v1
	v_mul_f32_e32 v19, v53, v3
	s_waitcnt lgkmcnt(0)
	v_mul_f32_e32 v24, v63, v5
	v_mul_f32_e32 v27, v55, v7
	v_fmac_f32_e32 v17, v60, v0
	v_mul_f32_e32 v0, v61, v0
	v_fmac_f32_e32 v19, v52, v2
	v_fmac_f32_e32 v24, v62, v4
	;; [unrolled: 1-line block ×3, first 2 shown]
	v_fma_f32 v20, v60, v1, -v0
	v_mul_f32_e32 v0, v63, v4
	v_fma_f32 v28, v62, v5, -v0
	v_mul_f32_e32 v0, v53, v2
	;; [unrolled: 2-line block ×3, first 2 shown]
	v_fma_f32 v34, v54, v7, -v0
	ds_read2_b64 v[0:3], v200 offset0:90 offset1:95
	ds_read2_b64 v[4:7], v200 offset0:140 offset1:145
	s_waitcnt lgkmcnt(1)
	v_mul_f32_e32 v13, v69, v1
	s_waitcnt lgkmcnt(0)
	v_mul_f32_e32 v18, v71, v5
	v_mul_f32_e32 v14, v65, v3
	;; [unrolled: 1-line block ×3, first 2 shown]
	v_fmac_f32_e32 v13, v68, v0
	v_mul_f32_e32 v0, v69, v0
	v_fmac_f32_e32 v18, v70, v4
	v_fmac_f32_e32 v14, v64, v2
	v_fmac_f32_e32 v22, v66, v6
	v_fma_f32 v16, v68, v1, -v0
	v_mul_f32_e32 v0, v71, v4
	v_add_f32_e32 v1, v42, v76
	v_fma_f32 v23, v70, v5, -v0
	v_mul_f32_e32 v0, v65, v2
	v_add_f32_e32 v54, v1, v78
	v_add_f32_e32 v1, v75, v77
	v_fma_f32 v21, v64, v3, -v0
	v_mul_f32_e32 v0, v67, v6
	v_fma_f32 v29, v66, v7, -v0
	v_add_f32_e32 v0, v41, v75
	v_fma_f32 v41, -0.5, v1, v41
	v_add_f32_e32 v53, v0, v77
	v_add_f32_e32 v0, v76, v78
	v_fmamk_f32 v55, v57, 0xbf5db3d7, v41
	v_fmac_f32_e32 v41, 0x3f5db3d7, v57
	v_fma_f32 v42, -0.5, v0, v42
	ds_read2_b64 v[45:48], v200 offset0:10 offset1:15
	ds_read2_b64 v[49:52], v200 offset0:20 offset1:25
	;; [unrolled: 1-line block ×4, first 2 shown]
	v_fmamk_f32 v56, v58, 0x3f5db3d7, v42
	v_fmac_f32_e32 v42, 0xbf5db3d7, v58
	ds_write_b64 v200, v[55:56] offset:400
	ds_write_b64 v200, v[41:42] offset:800
	v_add_f32_e32 v41, v43, v36
	v_add_f32_e32 v42, v44, v72
	;; [unrolled: 1-line block ×4, first 2 shown]
	ds_write2_b64 v200, v[53:54], v[41:42] offset1:5
	v_add_f32_e32 v41, v36, v73
	v_sub_f32_e32 v42, v72, v74
	v_sub_f32_e32 v36, v36, v73
	v_fma_f32 v43, -0.5, v41, v43
	v_add_f32_e32 v41, v72, v74
	v_fmac_f32_e32 v44, -0.5, v41
	v_fmamk_f32 v41, v42, 0xbf5db3d7, v43
	v_fmac_f32_e32 v43, 0x3f5db3d7, v42
	v_fmamk_f32 v42, v36, 0x3f5db3d7, v44
	v_fmac_f32_e32 v44, 0xbf5db3d7, v36
	v_add_f32_e32 v36, v26, v33
	s_waitcnt lgkmcnt(6)
	v_fma_f32 v53, -0.5, v36, v45
	v_sub_f32_e32 v36, v31, v38
	v_fmamk_f32 v55, v36, 0xbf5db3d7, v53
	v_fmac_f32_e32 v53, 0x3f5db3d7, v36
	v_add_f32_e32 v36, v31, v38
	v_add_f32_e32 v31, v46, v31
	v_fma_f32 v54, -0.5, v36, v46
	v_sub_f32_e32 v36, v26, v33
	v_add_f32_e32 v26, v45, v26
	v_fmamk_f32 v56, v36, 0x3f5db3d7, v54
	v_fmac_f32_e32 v54, 0xbf5db3d7, v36
	ds_write2_b64 v200, v[43:44], v[53:54] offset0:105 offset1:110
	ds_write2_b64 v200, v[41:42], v[55:56] offset0:55 offset1:60
	v_add_f32_e32 v41, v26, v33
	v_add_f32_e32 v26, v47, v30
	;; [unrolled: 1-line block ×4, first 2 shown]
	v_sub_f32_e32 v33, v35, v40
	v_add_f32_e32 v43, v26, v37
	v_add_f32_e32 v26, v30, v37
	;; [unrolled: 1-line block ×4, first 2 shown]
	v_fma_f32 v47, -0.5, v26, v47
	v_add_f32_e32 v26, v35, v40
	ds_write2_b64 v200, v[41:42], v[43:44] offset0:10 offset1:15
	s_waitcnt lgkmcnt(8)
	v_fma_f32 v31, -0.5, v31, v50
	v_sub_f32_e32 v40, v9, v11
	v_sub_f32_e32 v41, v8, v10
	v_fmac_f32_e32 v48, -0.5, v26
	v_sub_f32_e32 v26, v30, v37
	v_add_f32_e32 v30, v8, v10
	v_fmamk_f32 v35, v33, 0xbf5db3d7, v47
	v_fmamk_f32 v38, v41, 0x3f5db3d7, v31
	v_fmac_f32_e32 v47, 0x3f5db3d7, v33
	v_fmamk_f32 v36, v26, 0x3f5db3d7, v48
	v_fma_f32 v30, -0.5, v30, v49
	v_fmac_f32_e32 v48, 0xbf5db3d7, v26
	v_add_f32_e32 v26, v32, v12
	v_fmac_f32_e32 v31, 0xbf5db3d7, v41
	v_add_f32_e32 v8, v49, v8
	v_fmamk_f32 v37, v40, 0xbf5db3d7, v30
	v_fmac_f32_e32 v30, 0x3f5db3d7, v40
	v_add_f32_e32 v9, v50, v9
	v_add_f32_e32 v8, v8, v10
	ds_write2_b64 v200, v[35:36], v[37:38] offset0:65 offset1:70
	v_add_f32_e32 v37, v51, v32
	v_fma_f32 v51, -0.5, v26, v51
	v_sub_f32_e32 v26, v39, v15
	ds_write2_b64 v200, v[47:48], v[30:31] offset0:115 offset1:120
	v_add_f32_e32 v38, v52, v39
	v_add_f32_e32 v9, v9, v11
	;; [unrolled: 1-line block ×3, first 2 shown]
	v_fmamk_f32 v30, v26, 0xbf5db3d7, v51
	v_fmac_f32_e32 v51, 0x3f5db3d7, v26
	v_add_f32_e32 v26, v39, v15
	v_add_f32_e32 v11, v38, v15
	v_fmac_f32_e32 v52, -0.5, v26
	v_sub_f32_e32 v26, v32, v12
	v_sub_f32_e32 v12, v13, v18
	v_fmamk_f32 v31, v26, 0x3f5db3d7, v52
	v_fmac_f32_e32 v52, 0xbf5db3d7, v26
	v_add_f32_e32 v26, v17, v24
	s_waitcnt lgkmcnt(9)
	v_fma_f32 v32, -0.5, v26, v4
	v_sub_f32_e32 v26, v20, v28
	v_add_f32_e32 v4, v4, v17
	v_fmamk_f32 v35, v26, 0xbf5db3d7, v32
	v_fmac_f32_e32 v32, 0x3f5db3d7, v26
	v_add_f32_e32 v26, v20, v28
	v_add_f32_e32 v4, v4, v24
	v_fma_f32 v33, -0.5, v26, v5
	v_sub_f32_e32 v26, v17, v24
	v_add_f32_e32 v5, v5, v20
	v_fmamk_f32 v36, v26, 0x3f5db3d7, v33
	v_fmac_f32_e32 v33, 0xbf5db3d7, v26
	v_add_f32_e32 v5, v5, v28
	ds_write2_b64 v200, v[51:52], v[32:33] offset0:125 offset1:130
	ds_write2_b64 v200, v[8:9], v[10:11] offset0:20 offset1:25
	;; [unrolled: 1-line block ×3, first 2 shown]
	v_add_f32_e32 v8, v6, v19
	v_add_f32_e32 v9, v7, v25
	;; [unrolled: 1-line block ×4, first 2 shown]
	ds_write2_b64 v200, v[4:5], v[8:9] offset0:30 offset1:35
	v_add_f32_e32 v4, v19, v27
	v_sub_f32_e32 v5, v25, v34
	v_sub_f32_e32 v8, v19, v27
	;; [unrolled: 1-line block ×3, first 2 shown]
	v_fma_f32 v6, -0.5, v4, v6
	v_add_f32_e32 v4, v25, v34
	v_fmac_f32_e32 v7, -0.5, v4
	v_fmamk_f32 v4, v5, 0xbf5db3d7, v6
	v_fmac_f32_e32 v6, 0x3f5db3d7, v5
	v_fmamk_f32 v5, v8, 0x3f5db3d7, v7
	v_fmac_f32_e32 v7, 0xbf5db3d7, v8
	v_add_f32_e32 v8, v13, v18
	s_waitcnt lgkmcnt(12)
	v_fma_f32 v8, -0.5, v8, v0
	v_add_f32_e32 v0, v0, v13
	v_fmamk_f32 v10, v9, 0xbf5db3d7, v8
	v_fmac_f32_e32 v8, 0x3f5db3d7, v9
	v_add_f32_e32 v9, v16, v23
	v_add_f32_e32 v0, v0, v18
	v_fma_f32 v9, -0.5, v9, v1
	v_add_f32_e32 v1, v1, v16
	v_fmamk_f32 v11, v12, 0x3f5db3d7, v9
	v_fmac_f32_e32 v9, 0xbf5db3d7, v12
	ds_write2_b64 v200, v[6:7], v[8:9] offset0:135 offset1:140
	ds_write2_b64 v200, v[4:5], v[10:11] offset0:85 offset1:90
	v_add_f32_e32 v4, v2, v14
	v_add_f32_e32 v5, v3, v21
	;; [unrolled: 1-line block ×5, first 2 shown]
	ds_write2_b64 v200, v[0:1], v[4:5] offset0:40 offset1:45
	v_add_f32_e32 v0, v14, v22
	v_sub_f32_e32 v1, v21, v29
	v_sub_f32_e32 v4, v14, v22
	v_fma_f32 v2, -0.5, v0, v2
	v_add_f32_e32 v0, v21, v29
	v_fmac_f32_e32 v3, -0.5, v0
	v_fmamk_f32 v0, v1, 0xbf5db3d7, v2
	v_fmac_f32_e32 v2, 0x3f5db3d7, v1
	v_fmamk_f32 v1, v4, 0x3f5db3d7, v3
	v_fmac_f32_e32 v3, 0xbf5db3d7, v4
	ds_write_b64 v200, v[2:3] offset:1160
	ds_write_b64 v200, v[0:1] offset:760
	s_waitcnt lgkmcnt(0)
	s_barrier
	buffer_gl0_inv
	ds_read2_b64 v[1:4], v200 offset1:5
	ds_read2_b64 v[6:9], v200 offset0:30 offset1:35
	ds_read2_b64 v[22:25], v200 offset0:120 offset1:125
	;; [unrolled: 1-line block ×3, first 2 shown]
	s_waitcnt lgkmcnt(3)
	v_mul_f32_e32 v0, v184, v2
	s_waitcnt lgkmcnt(2)
	v_mul_f32_e32 v5, v158, v7
	;; [unrolled: 2-line block ×3, first 2 shown]
	v_mul_f32_e32 v21, v144, v23
	v_mul_f32_e32 v15, v182, v24
	v_fmac_f32_e32 v0, v183, v1
	v_mul_f32_e32 v1, v184, v1
	v_fmac_f32_e32 v5, v157, v6
	v_fma_f32 v23, v143, v23, -v14
	v_mul_f32_e32 v14, v182, v25
	v_fma_f32 v15, v181, v25, -v15
	v_fma_f32 v1, v183, v2, -v1
	v_mul_f32_e32 v2, v160, v4
	s_waitcnt lgkmcnt(0)
	v_mul_f32_e32 v16, v196, v18
	v_fmac_f32_e32 v14, v181, v24
	ds_read2_b64 v[24:27], v200 offset0:10 offset1:15
	v_fmac_f32_e32 v21, v143, v22
	v_fmac_f32_e32 v2, v159, v3
	v_mul_f32_e32 v3, v160, v3
	v_fmac_f32_e32 v16, v195, v17
	v_fma_f32 v3, v159, v4, -v3
	v_mul_f32_e32 v4, v158, v6
	v_mul_f32_e32 v6, v180, v8
	v_fma_f32 v7, v157, v7, -v4
	v_mul_f32_e32 v4, v180, v9
	v_fma_f32 v6, v179, v9, -v6
	v_fmac_f32_e32 v4, v179, v8
	ds_read2_b64 v[8:11], v200 offset0:60 offset1:65
	s_waitcnt lgkmcnt(1)
	v_mul_f32_e32 v34, v142, v27
	v_fmac_f32_e32 v34, v141, v26
	s_waitcnt lgkmcnt(0)
	v_mul_f32_e32 v12, v150, v9
	v_fmac_f32_e32 v12, v149, v8
	v_mul_f32_e32 v8, v150, v8
	v_fma_f32 v13, v149, v9, -v8
	v_mul_f32_e32 v8, v194, v11
	v_mul_f32_e32 v9, v194, v10
	v_fmac_f32_e32 v8, v193, v10
	v_mul_f32_e32 v10, v196, v17
	v_fma_f32 v9, v193, v11, -v9
	v_mul_f32_e32 v11, v192, v19
	v_fma_f32 v17, v195, v18, -v10
	v_mul_f32_e32 v10, v192, v20
	v_mul_f32_e32 v18, v142, v26
	v_fma_f32 v11, v191, v20, -v11
	v_fmac_f32_e32 v10, v191, v19
	v_fma_f32 v35, v141, v27, -v18
	v_mul_f32_e32 v18, v188, v25
	v_mul_f32_e32 v19, v188, v24
	v_fmac_f32_e32 v18, v187, v24
	v_fma_f32 v19, v187, v25, -v19
	ds_read2_b64 v[24:27], v200 offset0:20 offset1:25
	s_waitcnt lgkmcnt(0)
	v_mul_f32_e32 v20, v190, v24
	v_mul_f32_e32 v22, v154, v26
	;; [unrolled: 1-line block ×3, first 2 shown]
	v_fma_f32 v37, v189, v25, -v20
	v_mul_f32_e32 v20, v154, v27
	v_fma_f32 v22, v153, v27, -v22
	v_fmac_f32_e32 v36, v189, v24
	v_fmac_f32_e32 v20, v153, v26
	ds_read2_b64 v[25:28], v200 offset0:40 offset1:45
	s_waitcnt lgkmcnt(0)
	v_mul_f32_e32 v24, v138, v27
	v_mul_f32_e32 v38, v138, v28
	v_fma_f32 v39, v137, v28, -v24
	v_mul_f32_e32 v24, v152, v26
	v_fmac_f32_e32 v38, v137, v27
	v_fmac_f32_e32 v24, v151, v25
	v_mul_f32_e32 v25, v152, v25
	v_fma_f32 v25, v151, v26, -v25
	ds_read2_b64 v[26:29], v200 offset0:50 offset1:55
	s_waitcnt lgkmcnt(0)
	v_mul_f32_e32 v40, v148, v27
	v_fmac_f32_e32 v40, v147, v26
	v_mul_f32_e32 v26, v148, v26
	v_fma_f32 v41, v147, v27, -v26
	v_mul_f32_e32 v26, v146, v29
	v_mul_f32_e32 v27, v146, v28
	v_fmac_f32_e32 v26, v145, v28
	v_fma_f32 v42, v145, v29, -v27
	ds_read2_b64 v[28:31], v200 offset0:70 offset1:75
	s_waitcnt lgkmcnt(0)
	v_mul_f32_e32 v27, v178, v30
	v_mul_f32_e32 v43, v178, v31
	v_fma_f32 v44, v177, v31, -v27
	v_mul_f32_e32 v27, v176, v29
	v_fmac_f32_e32 v43, v177, v30
	v_fmac_f32_e32 v27, v175, v28
	v_mul_f32_e32 v28, v176, v28
	v_fma_f32 v45, v175, v29, -v28
	ds_read2_b64 v[28:31], v200 offset0:80 offset1:85
	s_waitcnt lgkmcnt(0)
	v_mul_f32_e32 v46, v186, v29
	v_mul_f32_e32 v48, v172, v31
	v_fmac_f32_e32 v46, v185, v28
	v_mul_f32_e32 v28, v186, v28
	v_fmac_f32_e32 v48, v171, v30
	v_fma_f32 v47, v185, v29, -v28
	v_mul_f32_e32 v28, v172, v30
	v_fma_f32 v49, v171, v31, -v28
	ds_read2_b64 v[28:31], v200 offset0:100 offset1:105
	s_waitcnt lgkmcnt(0)
	v_mul_f32_e32 v50, v174, v31
	v_mul_f32_e32 v52, v170, v29
	v_fmac_f32_e32 v50, v173, v30
	v_mul_f32_e32 v30, v174, v30
	v_fmac_f32_e32 v52, v169, v28
	v_mul_f32_e32 v28, v170, v28
	v_fma_f32 v51, v173, v31, -v30
	v_fma_f32 v53, v169, v29, -v28
	ds_read2_b64 v[28:31], v200 offset0:110 offset1:115
	s_waitcnt lgkmcnt(0)
	v_mul_f32_e32 v54, v168, v29
	v_mul_f32_e32 v56, v166, v31
	v_fmac_f32_e32 v54, v167, v28
	v_mul_f32_e32 v28, v168, v28
	v_fmac_f32_e32 v56, v165, v30
	v_fma_f32 v55, v167, v29, -v28
	v_mul_f32_e32 v28, v166, v30
	v_fma_f32 v57, v165, v31, -v28
	v_mad_u64_u32 v[28:29], null, s2, v136, 0
	v_mad_u64_u32 v[29:30], null, s3, v136, v[29:30]
	v_cvt_f64_f32_e32 v[30:31], v0
	v_cvt_f64_f32_e32 v[0:1], v1
	s_mov_b32 s2, 0xb4e81b4f
	s_mov_b32 s3, 0x3f7b4e81
	v_lshlrev_b64 v[28:29], 3, v[28:29]
	v_add_co_u32 v58, vcc_lo, s4, v28
	v_add_co_ci_u32_e32 v59, vcc_lo, s5, v29, vcc_lo
	v_cvt_f64_f32_e32 v[28:29], v34
	s_mul_i32 s4, s1, 0x78
	s_mul_hi_u32 s5, s0, 0x78
	s_add_i32 s4, s5, s4
	s_mul_i32 s5, s0, 0x78
	v_mul_f64 v[30:31], v[30:31], s[2:3]
	v_mul_f64 v[0:1], v[0:1], s[2:3]
	;; [unrolled: 1-line block ×3, first 2 shown]
	v_cvt_f32_f64_e32 v30, v[30:31]
	v_cvt_f32_f64_e32 v31, v[0:1]
	v_mad_u64_u32 v[0:1], null, s0, v198, 0
	v_mad_u64_u32 v[32:33], null, s1, v198, v[1:2]
	v_cvt_f32_f64_e32 v28, v[28:29]
	v_mov_b32_e32 v1, v32
	v_cvt_f64_f32_e32 v[32:33], v7
	v_lshlrev_b64 v[0:1], 3, v[0:1]
	v_add_co_u32 v0, vcc_lo, v58, v0
	v_add_co_ci_u32_e32 v1, vcc_lo, v59, v1, vcc_lo
	global_store_dwordx2 v[0:1], v[30:31], off
	v_cvt_f64_f32_e32 v[30:31], v35
	v_add_co_u32 v0, vcc_lo, v0, s5
	v_add_co_ci_u32_e32 v1, vcc_lo, s4, v1, vcc_lo
	v_mul_f64 v[32:33], v[32:33], s[2:3]
	v_cvt_f64_f32_e32 v[34:35], v39
	v_mul_f64 v[30:31], v[30:31], s[2:3]
	v_mul_f64 v[34:35], v[34:35], s[2:3]
	v_cvt_f32_f64_e32 v29, v[30:31]
	v_cvt_f64_f32_e32 v[30:31], v5
	global_store_dwordx2 v[0:1], v[28:29], off
	v_mul_f64 v[30:31], v[30:31], s[2:3]
	v_cvt_f64_f32_e32 v[28:29], v12
	v_cvt_f64_f32_e32 v[12:13], v13
	v_add_co_u32 v0, vcc_lo, v0, s5
	v_add_co_ci_u32_e32 v1, vcc_lo, s4, v1, vcc_lo
	v_cvt_f32_f64_e32 v30, v[30:31]
	v_cvt_f32_f64_e32 v31, v[32:33]
	v_mul_f64 v[28:29], v[28:29], s[2:3]
	v_mul_f64 v[12:13], v[12:13], s[2:3]
	v_cvt_f64_f32_e32 v[32:33], v38
	global_store_dwordx2 v[0:1], v[30:31], off
	v_cvt_f32_f64_e32 v28, v[28:29]
	v_cvt_f32_f64_e32 v29, v[12:13]
	v_cvt_f64_f32_e32 v[12:13], v43
	v_cvt_f64_f32_e32 v[30:31], v44
	v_mul_f64 v[32:33], v[32:33], s[2:3]
	v_add_co_u32 v0, vcc_lo, v0, s5
	v_add_co_ci_u32_e32 v1, vcc_lo, s4, v1, vcc_lo
	v_mul_f64 v[12:13], v[12:13], s[2:3]
	v_mul_f64 v[30:31], v[30:31], s[2:3]
	v_cvt_f32_f64_e32 v32, v[32:33]
	v_cvt_f32_f64_e32 v33, v[34:35]
	v_cvt_f64_f32_e32 v[34:35], v2
	v_cvt_f64_f32_e32 v[2:3], v3
	v_cvt_f32_f64_e32 v12, v[12:13]
	v_cvt_f32_f64_e32 v13, v[30:31]
	v_cvt_f64_f32_e32 v[30:31], v16
	v_cvt_f64_f32_e32 v[16:17], v17
	global_store_dwordx2 v[0:1], v[32:33], off
	v_add_co_u32 v0, vcc_lo, v0, s5
	v_add_co_ci_u32_e32 v1, vcc_lo, s4, v1, vcc_lo
	v_cvt_f64_f32_e32 v[32:33], v23
	v_mul_f64 v[2:3], v[2:3], s[2:3]
	global_store_dwordx2 v[0:1], v[28:29], off
	v_cvt_f64_f32_e32 v[28:29], v51
	v_add_co_u32 v0, vcc_lo, v0, s5
	v_add_co_ci_u32_e32 v1, vcc_lo, s4, v1, vcc_lo
	global_store_dwordx2 v[0:1], v[12:13], off
	v_mul_f64 v[30:31], v[30:31], s[2:3]
	v_mul_f64 v[16:17], v[16:17], s[2:3]
	v_cvt_f64_f32_e32 v[12:13], v21
	v_add_co_u32 v0, vcc_lo, v0, s5
	v_add_co_ci_u32_e32 v1, vcc_lo, s4, v1, vcc_lo
	v_mul_f64 v[28:29], v[28:29], s[2:3]
	v_cvt_f32_f64_e32 v30, v[30:31]
	v_cvt_f32_f64_e32 v31, v[16:17]
	v_cvt_f64_f32_e32 v[16:17], v50
	v_mul_f64 v[12:13], v[12:13], s[2:3]
	global_store_dwordx2 v[0:1], v[30:31], off
	v_mul_f64 v[16:17], v[16:17], s[2:3]
	v_mul_f64 v[30:31], v[32:33], s[2:3]
	v_mad_u64_u32 v[32:33], null, s0, v197, 0
	v_cvt_f32_f64_e32 v12, v[12:13]
	v_add_co_u32 v0, vcc_lo, v0, s5
	v_add_co_ci_u32_e32 v1, vcc_lo, s4, v1, vcc_lo
	v_mov_b32_e32 v5, v33
	v_cvt_f32_f64_e32 v16, v[16:17]
	v_cvt_f32_f64_e32 v17, v[28:29]
	v_mad_u64_u32 v[28:29], null, s1, v197, v[5:6]
	v_cvt_f32_f64_e32 v13, v[30:31]
	v_mov_b32_e32 v33, v28
	ds_read2_b64 v[28:31], v200 offset0:130 offset1:135
	global_store_dwordx2 v[0:1], v[16:17], off
	s_waitcnt lgkmcnt(0)
	v_mul_f32_e32 v5, v162, v31
	v_mul_f32_e32 v7, v162, v30
	v_fmac_f32_e32 v5, v161, v30
	v_fma_f32 v7, v161, v31, -v7
	v_lshlrev_b64 v[30:31], 3, v[32:33]
	v_cvt_f64_f32_e32 v[16:17], v5
	v_cvt_f64_f32_e32 v[32:33], v7
	;; [unrolled: 1-line block ×3, first 2 shown]
	v_add_co_u32 v30, vcc_lo, v58, v30
	v_add_co_ci_u32_e32 v31, vcc_lo, v59, v31, vcc_lo
	v_cvt_f64_f32_e32 v[6:7], v6
	v_add_co_u32 v0, vcc_lo, v0, s7
	global_store_dwordx2 v[30:31], v[12:13], off
	v_mul_f64 v[30:31], v[34:35], s[2:3]
	v_cvt_f64_f32_e32 v[34:35], v41
	v_add_co_ci_u32_e32 v1, vcc_lo, s6, v1, vcc_lo
	v_mul_f64 v[12:13], v[16:17], s[2:3]
	v_mul_f64 v[16:17], v[32:33], s[2:3]
	v_cvt_f64_f32_e32 v[32:33], v40
	v_mul_f64 v[4:5], v[4:5], s[2:3]
	v_mul_f64 v[6:7], v[6:7], s[2:3]
	;; [unrolled: 1-line block ×3, first 2 shown]
	v_cvt_f32_f64_e32 v12, v[12:13]
	v_cvt_f32_f64_e32 v13, v[16:17]
	;; [unrolled: 1-line block ×4, first 2 shown]
	v_cvt_f64_f32_e32 v[2:3], v36
	v_cvt_f64_f32_e32 v[30:31], v37
	v_mul_f64 v[32:33], v[32:33], s[2:3]
	v_cvt_f32_f64_e32 v4, v[4:5]
	v_cvt_f32_f64_e32 v5, v[6:7]
	;; [unrolled: 1-line block ×3, first 2 shown]
	v_cvt_f64_f32_e32 v[34:35], v47
	global_store_dwordx2 v[0:1], v[12:13], off
	v_cvt_f64_f32_e32 v[12:13], v8
	v_cvt_f64_f32_e32 v[8:9], v9
	v_mul_f64 v[2:3], v[2:3], s[2:3]
	v_mul_f64 v[30:31], v[30:31], s[2:3]
	v_mad_u64_u32 v[0:1], null, 0xfffffbf0, s0, v[0:1]
	v_cvt_f32_f64_e32 v6, v[32:33]
	v_add_nc_u32_e32 v1, s8, v1
	v_add_co_u32 v32, vcc_lo, v0, s5
	v_add_co_ci_u32_e32 v33, vcc_lo, s4, v1, vcc_lo
	global_store_dwordx2 v[0:1], v[16:17], off
	v_add_co_u32 v16, vcc_lo, v32, s5
	v_mul_f64 v[12:13], v[12:13], s[2:3]
	v_mul_f64 v[8:9], v[8:9], s[2:3]
	v_cvt_f32_f64_e32 v36, v[2:3]
	v_cvt_f32_f64_e32 v37, v[30:31]
	v_cvt_f64_f32_e32 v[30:31], v46
	ds_read2_b64 v[0:3], v200 offset0:140 offset1:145
	v_add_co_ci_u32_e32 v17, vcc_lo, s4, v33, vcc_lo
	v_add_co_u32 v38, vcc_lo, v16, s5
	v_add_co_ci_u32_e32 v39, vcc_lo, s4, v17, vcc_lo
	global_store_dwordx2 v[32:33], v[36:37], off
	global_store_dwordx2 v[16:17], v[4:5], off
	;; [unrolled: 1-line block ×3, first 2 shown]
	v_cvt_f64_f32_e32 v[6:7], v10
	v_cvt_f64_f32_e32 v[10:11], v11
	v_mul_f64 v[4:5], v[30:31], s[2:3]
	v_mul_f64 v[16:17], v[34:35], s[2:3]
	v_cvt_f64_f32_e32 v[30:31], v54
	s_waitcnt lgkmcnt(0)
	v_mul_f32_e32 v21, v164, v1
	v_mul_f32_e32 v23, v164, v0
	v_cvt_f64_f32_e32 v[34:35], v55
	v_mad_u64_u32 v[32:33], null, s0, v201, 0
	v_fmac_f32_e32 v21, v163, v0
	v_fma_f32 v1, v163, v1, -v23
	v_cvt_f32_f64_e32 v12, v[12:13]
	v_cvt_f32_f64_e32 v13, v[8:9]
	v_cvt_f64_f32_e32 v[8:9], v14
	v_cvt_f64_f32_e32 v[14:15], v15
	;; [unrolled: 1-line block ×4, first 2 shown]
	v_mov_b32_e32 v0, v33
	v_mul_f64 v[6:7], v[6:7], s[2:3]
	v_mul_f64 v[10:11], v[10:11], s[2:3]
	v_cvt_f32_f64_e32 v4, v[4:5]
	v_cvt_f32_f64_e32 v5, v[16:17]
	v_mul_f64 v[16:17], v[30:31], s[2:3]
	v_cvt_f64_f32_e32 v[30:31], v18
	v_cvt_f64_f32_e32 v[18:19], v19
	v_mad_u64_u32 v[0:1], null, s1, v201, v[0:1]
	v_mul_f64 v[8:9], v[8:9], s[2:3]
	v_mov_b32_e32 v33, v0
	v_mul_f64 v[0:1], v[34:35], s[2:3]
	v_add_co_u32 v34, vcc_lo, v38, s5
	v_mul_f64 v[14:15], v[14:15], s[2:3]
	v_add_co_ci_u32_e32 v35, vcc_lo, s4, v39, vcc_lo
	v_mul_f64 v[36:37], v[36:37], s[2:3]
	v_mul_f64 v[38:39], v[40:41], s[2:3]
	v_cvt_f32_f64_e32 v6, v[6:7]
	v_cvt_f32_f64_e32 v7, v[10:11]
	v_cvt_f64_f32_e32 v[10:11], v20
	v_cvt_f64_f32_e32 v[20:21], v22
	v_mul_f64 v[22:23], v[30:31], s[2:3]
	v_mul_f64 v[18:19], v[18:19], s[2:3]
	v_lshlrev_b64 v[32:33], 3, v[32:33]
	v_cvt_f32_f64_e32 v16, v[16:17]
	global_store_dwordx2 v[34:35], v[12:13], off
	v_add_co_u32 v32, vcc_lo, v58, v32
	v_cvt_f32_f64_e32 v17, v[0:1]
	v_add_co_ci_u32_e32 v33, vcc_lo, v59, v33, vcc_lo
	v_cvt_f32_f64_e32 v8, v[8:9]
	v_cvt_f32_f64_e32 v9, v[14:15]
	v_add_co_u32 v30, vcc_lo, v34, s7
	v_cvt_f32_f64_e32 v14, v[36:37]
	v_cvt_f32_f64_e32 v15, v[38:39]
	v_add_co_ci_u32_e32 v31, vcc_lo, s6, v35, vcc_lo
	v_add_co_u32 v0, vcc_lo, v30, s5
	v_mul_f64 v[20:21], v[20:21], s[2:3]
	v_add_co_ci_u32_e32 v1, vcc_lo, s4, v31, vcc_lo
	v_add_co_u32 v36, vcc_lo, v0, s5
	v_mul_f64 v[10:11], v[10:11], s[2:3]
	v_cvt_f32_f64_e32 v22, v[22:23]
	v_cvt_f32_f64_e32 v23, v[18:19]
	v_cvt_f64_f32_e32 v[18:19], v24
	v_cvt_f64_f32_e32 v[24:25], v25
	v_add_co_ci_u32_e32 v37, vcc_lo, s4, v1, vcc_lo
	v_mad_u64_u32 v[34:35], null, s0, v199, 0
	v_add_co_u32 v38, vcc_lo, v36, s5
	v_add_co_ci_u32_e32 v39, vcc_lo, s4, v37, vcc_lo
	global_store_dwordx2 v[32:33], v[4:5], off
	global_store_dwordx2 v[30:31], v[6:7], off
	;; [unrolled: 1-line block ×5, first 2 shown]
	v_cvt_f64_f32_e32 v[4:5], v26
	v_cvt_f64_f32_e32 v[6:7], v42
	v_mov_b32_e32 v0, v35
	v_mad_u64_u32 v[12:13], null, 0xfffffbf0, s0, v[38:39]
	v_mul_f32_e32 v30, v140, v29
	v_cvt_f32_f64_e32 v9, v[20:21]
	v_mad_u64_u32 v[0:1], null, s1, v199, v[0:1]
	v_mul_f32_e32 v20, v140, v28
	v_cvt_f32_f64_e32 v8, v[10:11]
	v_mul_f64 v[10:11], v[18:19], s[2:3]
	v_mul_f64 v[14:15], v[24:25], s[2:3]
	v_cvt_f64_f32_e32 v[16:17], v45
	v_fmac_f32_e32 v30, v139, v28
	v_mov_b32_e32 v35, v0
	v_cvt_f64_f32_e32 v[0:1], v27
	v_mul_f32_e32 v32, v156, v3
	v_mul_f32_e32 v28, v156, v2
	v_add_nc_u32_e32 v13, s8, v13
	v_fma_f32 v31, v139, v29, -v20
	v_cvt_f64_f32_e32 v[18:19], v48
	v_cvt_f64_f32_e32 v[20:21], v49
	v_fmac_f32_e32 v32, v155, v2
	v_fma_f32 v36, v155, v3, -v28
	global_store_dwordx2 v[12:13], v[22:23], off
	v_mul_f64 v[4:5], v[4:5], s[2:3]
	v_mul_f64 v[6:7], v[6:7], s[2:3]
	v_cvt_f64_f32_e32 v[22:23], v52
	v_cvt_f64_f32_e32 v[24:25], v53
	;; [unrolled: 1-line block ×8, first 2 shown]
	v_cvt_f32_f64_e32 v10, v[10:11]
	v_cvt_f32_f64_e32 v11, v[14:15]
	v_mul_f64 v[0:1], v[0:1], s[2:3]
	v_mul_f64 v[14:15], v[16:17], s[2:3]
	v_add_co_u32 v12, vcc_lo, v12, s5
	v_add_co_ci_u32_e32 v13, vcc_lo, s4, v13, vcc_lo
	v_mul_f64 v[16:17], v[18:19], s[2:3]
	v_mul_f64 v[18:19], v[20:21], s[2:3]
	global_store_dwordx2 v[12:13], v[8:9], off
	v_cvt_f32_f64_e32 v4, v[4:5]
	v_cvt_f32_f64_e32 v5, v[6:7]
	v_mul_f64 v[6:7], v[22:23], s[2:3]
	v_mul_f64 v[20:21], v[24:25], s[2:3]
	v_lshlrev_b64 v[8:9], 3, v[34:35]
	v_mul_f64 v[22:23], v[26:27], s[2:3]
	v_mul_f64 v[2:3], v[2:3], s[2:3]
	v_mul_f64 v[24:25], v[28:29], s[2:3]
	v_mul_f64 v[26:27], v[30:31], s[2:3]
	v_mul_f64 v[28:29], v[32:33], s[2:3]
	v_mul_f64 v[30:31], v[36:37], s[2:3]
	v_add_co_u32 v8, vcc_lo, v58, v8
	v_add_co_ci_u32_e32 v9, vcc_lo, v59, v9, vcc_lo
	v_add_co_u32 v12, vcc_lo, v12, s7
	v_add_co_ci_u32_e32 v13, vcc_lo, s6, v13, vcc_lo
	v_cvt_f32_f64_e32 v0, v[0:1]
	v_cvt_f32_f64_e32 v1, v[14:15]
	v_add_co_u32 v14, vcc_lo, v12, s5
	v_add_co_ci_u32_e32 v15, vcc_lo, s4, v13, vcc_lo
	v_cvt_f32_f64_e32 v16, v[16:17]
	v_cvt_f32_f64_e32 v17, v[18:19]
	;; [unrolled: 4-line block ×3, first 2 shown]
	v_cvt_f32_f64_e32 v20, v[22:23]
	v_cvt_f32_f64_e32 v21, v[2:3]
	;; [unrolled: 1-line block ×6, first 2 shown]
	v_add_co_u32 v24, vcc_lo, v18, s5
	v_add_co_ci_u32_e32 v25, vcc_lo, s4, v19, vcc_lo
	global_store_dwordx2 v[8:9], v[10:11], off
	v_add_co_u32 v8, vcc_lo, v24, s5
	v_add_co_ci_u32_e32 v9, vcc_lo, s4, v25, vcc_lo
	global_store_dwordx2 v[12:13], v[4:5], off
	;; [unrolled: 3-line block ×4, first 2 shown]
	global_store_dwordx2 v[24:25], v[6:7], off
	global_store_dwordx2 v[8:9], v[20:21], off
	;; [unrolled: 1-line block ×4, first 2 shown]
.LBB0_2:
	s_endpgm
	.section	.rodata,"a",@progbits
	.p2align	6, 0x0
	.amdhsa_kernel bluestein_single_fwd_len150_dim1_sp_op_CI_CI
		.amdhsa_group_segment_fixed_size 14400
		.amdhsa_private_segment_fixed_size 0
		.amdhsa_kernarg_size 104
		.amdhsa_user_sgpr_count 6
		.amdhsa_user_sgpr_private_segment_buffer 1
		.amdhsa_user_sgpr_dispatch_ptr 0
		.amdhsa_user_sgpr_queue_ptr 0
		.amdhsa_user_sgpr_kernarg_segment_ptr 1
		.amdhsa_user_sgpr_dispatch_id 0
		.amdhsa_user_sgpr_flat_scratch_init 0
		.amdhsa_user_sgpr_private_segment_size 0
		.amdhsa_wavefront_size32 1
		.amdhsa_uses_dynamic_stack 0
		.amdhsa_system_sgpr_private_segment_wavefront_offset 0
		.amdhsa_system_sgpr_workgroup_id_x 1
		.amdhsa_system_sgpr_workgroup_id_y 0
		.amdhsa_system_sgpr_workgroup_id_z 0
		.amdhsa_system_sgpr_workgroup_info 0
		.amdhsa_system_vgpr_workitem_id 0
		.amdhsa_next_free_vgpr 231
		.amdhsa_next_free_sgpr 20
		.amdhsa_reserve_vcc 1
		.amdhsa_reserve_flat_scratch 0
		.amdhsa_float_round_mode_32 0
		.amdhsa_float_round_mode_16_64 0
		.amdhsa_float_denorm_mode_32 3
		.amdhsa_float_denorm_mode_16_64 3
		.amdhsa_dx10_clamp 1
		.amdhsa_ieee_mode 1
		.amdhsa_fp16_overflow 0
		.amdhsa_workgroup_processor_mode 1
		.amdhsa_memory_ordered 1
		.amdhsa_forward_progress 0
		.amdhsa_shared_vgpr_count 0
		.amdhsa_exception_fp_ieee_invalid_op 0
		.amdhsa_exception_fp_denorm_src 0
		.amdhsa_exception_fp_ieee_div_zero 0
		.amdhsa_exception_fp_ieee_overflow 0
		.amdhsa_exception_fp_ieee_underflow 0
		.amdhsa_exception_fp_ieee_inexact 0
		.amdhsa_exception_int_div_zero 0
	.end_amdhsa_kernel
	.text
.Lfunc_end0:
	.size	bluestein_single_fwd_len150_dim1_sp_op_CI_CI, .Lfunc_end0-bluestein_single_fwd_len150_dim1_sp_op_CI_CI
                                        ; -- End function
	.section	.AMDGPU.csdata,"",@progbits
; Kernel info:
; codeLenInByte = 21012
; NumSgprs: 22
; NumVgprs: 231
; ScratchSize: 0
; MemoryBound: 0
; FloatMode: 240
; IeeeMode: 1
; LDSByteSize: 14400 bytes/workgroup (compile time only)
; SGPRBlocks: 2
; VGPRBlocks: 28
; NumSGPRsForWavesPerEU: 22
; NumVGPRsForWavesPerEU: 231
; Occupancy: 4
; WaveLimiterHint : 1
; COMPUTE_PGM_RSRC2:SCRATCH_EN: 0
; COMPUTE_PGM_RSRC2:USER_SGPR: 6
; COMPUTE_PGM_RSRC2:TRAP_HANDLER: 0
; COMPUTE_PGM_RSRC2:TGID_X_EN: 1
; COMPUTE_PGM_RSRC2:TGID_Y_EN: 0
; COMPUTE_PGM_RSRC2:TGID_Z_EN: 0
; COMPUTE_PGM_RSRC2:TIDIG_COMP_CNT: 0
	.text
	.p2alignl 6, 3214868480
	.fill 48, 4, 3214868480
	.type	__hip_cuid_f6d40e9f28e619ba,@object ; @__hip_cuid_f6d40e9f28e619ba
	.section	.bss,"aw",@nobits
	.globl	__hip_cuid_f6d40e9f28e619ba
__hip_cuid_f6d40e9f28e619ba:
	.byte	0                               ; 0x0
	.size	__hip_cuid_f6d40e9f28e619ba, 1

	.ident	"AMD clang version 19.0.0git (https://github.com/RadeonOpenCompute/llvm-project roc-6.4.0 25133 c7fe45cf4b819c5991fe208aaa96edf142730f1d)"
	.section	".note.GNU-stack","",@progbits
	.addrsig
	.addrsig_sym __hip_cuid_f6d40e9f28e619ba
	.amdgpu_metadata
---
amdhsa.kernels:
  - .args:
      - .actual_access:  read_only
        .address_space:  global
        .offset:         0
        .size:           8
        .value_kind:     global_buffer
      - .actual_access:  read_only
        .address_space:  global
        .offset:         8
        .size:           8
        .value_kind:     global_buffer
      - .actual_access:  read_only
        .address_space:  global
        .offset:         16
        .size:           8
        .value_kind:     global_buffer
      - .actual_access:  read_only
        .address_space:  global
        .offset:         24
        .size:           8
        .value_kind:     global_buffer
      - .actual_access:  read_only
        .address_space:  global
        .offset:         32
        .size:           8
        .value_kind:     global_buffer
      - .offset:         40
        .size:           8
        .value_kind:     by_value
      - .address_space:  global
        .offset:         48
        .size:           8
        .value_kind:     global_buffer
      - .address_space:  global
        .offset:         56
        .size:           8
        .value_kind:     global_buffer
      - .address_space:  global
        .offset:         64
        .size:           8
        .value_kind:     global_buffer
      - .address_space:  global
        .offset:         72
        .size:           8
        .value_kind:     global_buffer
      - .offset:         80
        .size:           4
        .value_kind:     by_value
      - .address_space:  global
        .offset:         88
        .size:           8
        .value_kind:     global_buffer
      - .address_space:  global
        .offset:         96
        .size:           8
        .value_kind:     global_buffer
    .group_segment_fixed_size: 14400
    .kernarg_segment_align: 8
    .kernarg_segment_size: 104
    .language:       OpenCL C
    .language_version:
      - 2
      - 0
    .max_flat_workgroup_size: 60
    .name:           bluestein_single_fwd_len150_dim1_sp_op_CI_CI
    .private_segment_fixed_size: 0
    .sgpr_count:     22
    .sgpr_spill_count: 0
    .symbol:         bluestein_single_fwd_len150_dim1_sp_op_CI_CI.kd
    .uniform_work_group_size: 1
    .uses_dynamic_stack: false
    .vgpr_count:     231
    .vgpr_spill_count: 0
    .wavefront_size: 32
    .workgroup_processor_mode: 1
amdhsa.target:   amdgcn-amd-amdhsa--gfx1030
amdhsa.version:
  - 1
  - 2
...

	.end_amdgpu_metadata
